;; amdgpu-corpus repo=vllm-project/vllm kind=compiled arch=gfx1100 opt=O3
	.text
	.amdgcn_target "amdgcn-amd-amdhsa--gfx1100"
	.amdhsa_code_object_version 6
	.section	.text._ZN4vllm10gptq_rdna320gemm_q4_kernel_rdna3I6__halfLi1EEEvPKT_PKjS7_S5_PS3_iiiiiPKi,"axG",@progbits,_ZN4vllm10gptq_rdna320gemm_q4_kernel_rdna3I6__halfLi1EEEvPKT_PKjS7_S5_PS3_iiiiiPKi,comdat
	.protected	_ZN4vllm10gptq_rdna320gemm_q4_kernel_rdna3I6__halfLi1EEEvPKT_PKjS7_S5_PS3_iiiiiPKi ; -- Begin function _ZN4vllm10gptq_rdna320gemm_q4_kernel_rdna3I6__halfLi1EEEvPKT_PKjS7_S5_PS3_iiiiiPKi
	.globl	_ZN4vllm10gptq_rdna320gemm_q4_kernel_rdna3I6__halfLi1EEEvPKT_PKjS7_S5_PS3_iiiiiPKi
	.p2align	8
	.type	_ZN4vllm10gptq_rdna320gemm_q4_kernel_rdna3I6__halfLi1EEEvPKT_PKjS7_S5_PS3_iiiiiPKi,@function
_ZN4vllm10gptq_rdna320gemm_q4_kernel_rdna3I6__halfLi1EEEvPKT_PKjS7_S5_PS3_iiiiiPKi: ; @_ZN4vllm10gptq_rdna320gemm_q4_kernel_rdna3I6__halfLi1EEEvPKT_PKjS7_S5_PS3_iiiiiPKi
; %bb.0:
	s_clause 0x2
	s_load_b256 s[4:11], s[0:1], 0x18
	s_load_b128 s[16:19], s[0:1], 0x8
	s_load_b32 s12, s[0:1], 0x38
	s_lshl_b32 s15, s15, 8
	s_mov_b32 s21, exec_lo
	v_add_nc_u32_e32 v1, s15, v0
	s_add_i32 s2, s15, 0x100
	s_waitcnt lgkmcnt(0)
	s_min_i32 s20, s2, s10
	s_delay_alu instid0(VALU_DEP_1) | instid1(SALU_CYCLE_1)
	v_cmpx_gt_i32_e64 s20, v1
	s_cbranch_execz .LBB0_6
; %bb.1:
	v_mov_b32_e32 v2, 0
	s_cmp_ge_i32 s14, s8
	s_cbranch_scc1 .LBB0_5
; %bb.2:
	s_clause 0x1
	s_load_b64 s[2:3], s[0:1], 0x40
	s_load_b64 s[0:1], s[0:1], 0x0
	s_waitcnt lgkmcnt(0)
	s_cmp_eq_u64 s[2:3], 0
	s_cbranch_scc1 .LBB0_4
; %bb.3:
	v_ashrrev_i32_e32 v2, 31, v1
	s_delay_alu instid0(VALU_DEP_1) | instskip(NEXT) | instid1(VALU_DEP_1)
	v_lshlrev_b64 v[1:2], 2, v[1:2]
	v_add_co_u32 v1, vcc_lo, s2, v1
	s_delay_alu instid0(VALU_DEP_2)
	v_add_co_ci_u32_e32 v2, vcc_lo, s3, v2, vcc_lo
	global_load_b32 v1, v[1:2], off
.LBB0_4:
	s_waitcnt vmcnt(0)
	v_ashrrev_i32_e32 v2, 31, v1
	s_mul_i32 s2, s14, s10
	s_delay_alu instid0(SALU_CYCLE_1) | instskip(NEXT) | instid1(SALU_CYCLE_1)
	s_ashr_i32 s3, s2, 31
	s_lshl_b64 s[2:3], s[2:3], 1
	s_delay_alu instid0(VALU_DEP_1) | instskip(SKIP_2) | instid1(VALU_DEP_1)
	v_lshlrev_b64 v[1:2], 1, v[1:2]
	s_add_u32 s0, s0, s2
	s_addc_u32 s1, s1, s3
	v_add_co_u32 v1, vcc_lo, s0, v1
	s_delay_alu instid0(VALU_DEP_2)
	v_add_co_ci_u32_e32 v2, vcc_lo, s1, v2, vcc_lo
	global_load_u16 v2, v[1:2], off
.LBB0_5:
	v_lshlrev_b32_e32 v1, 1, v0
	s_waitcnt vmcnt(0)
	ds_store_b16 v1, v2
.LBB0_6:
	s_or_b32 exec_lo, exec_lo, s21
	v_lshlrev_b32_e32 v1, 2, v0
	s_waitcnt lgkmcnt(0)
	s_barrier
	buffer_gl0_inv
	s_mov_b32 s0, exec_lo
	v_lshl_add_u32 v1, s13, 10, v1
	s_delay_alu instid0(VALU_DEP_1)
	v_cmpx_gt_i32_e64 s9, v1
	s_cbranch_execz .LBB0_16
; %bb.7:
	s_abs_i32 s0, s11
	v_dual_mov_b32 v7, 0 :: v_dual_mov_b32 v10, 0
	v_cvt_f32_u32_e32 v2, s0
	v_mov_b32_e32 v11, 0
	s_cmp_ge_i32 s15, s10
	s_mov_b32 s13, 0
	v_mov_b32_e32 v6, 0
	v_rcp_iflag_f32_e32 v2, v2
	s_waitcnt_depctr 0xfff
	v_mul_f32_e32 v3, 0x4f7ffffe, v2
	v_ashrrev_i32_e32 v2, 31, v1
	s_delay_alu instid0(VALU_DEP_2) | instskip(NEXT) | instid1(VALU_DEP_2)
	v_cvt_u32_f32_e32 v3, v3
	v_lshlrev_b64 v[8:9], 1, v[1:2]
	s_delay_alu instid0(VALU_DEP_2)
	v_readfirstlane_b32 s1, v3
	s_cbranch_scc1 .LBB0_13
; %bb.8:
	s_sub_i32 s2, 0, s0
	s_abs_i32 s3, s10
	s_delay_alu instid0(VALU_DEP_1)
	s_mul_i32 s2, s2, s1
	v_lshrrev_b32_e32 v4, 29, v2
	s_mul_hi_u32 s2, s1, s2
	v_lshlrev_b32_e32 v17, 4, v0
	s_add_i32 s1, s1, s2
	s_ashr_i32 s2, s10, 31
	s_mul_hi_u32 s1, s3, s1
	s_ashr_i32 s10, s11, 31
	s_mul_i32 s11, s1, s0
	s_xor_b32 s2, s2, s10
	s_sub_i32 s3, s3, s11
	s_add_i32 s10, s1, 1
	s_sub_i32 s11, s3, s0
	s_cmp_ge_u32 s3, s0
	v_dual_mov_b32 v33, 0 :: v_dual_and_b32 v14, 16, v17
	s_cselect_b32 s1, s10, s1
	s_cselect_b32 s3, s11, s3
	s_add_i32 s10, s1, 1
	s_cmp_ge_u32 s3, s0
	v_mov_b32_e32 v36, 0
	s_cselect_b32 s0, s10, s1
	s_abs_i32 s21, s15
	s_xor_b32 s0, s0, s2
	s_ashr_i32 s3, s9, 31
	s_sub_i32 s10, s0, s2
	s_lshr_b32 s11, s3, 29
	s_abs_i32 s0, s10
	s_add_i32 s11, s9, s11
	v_cvt_f32_u32_e32 v3, s0
	s_sub_i32 s2, 0, s0
	s_ashr_i32 s11, s11, 3
	v_dual_mov_b32 v34, 0 :: v_dual_mov_b32 v35, 0
	s_delay_alu instid0(VALU_DEP_2) | instskip(SKIP_2) | instid1(VALU_DEP_1)
	v_rcp_iflag_f32_e32 v3, v3
	s_waitcnt_depctr 0xfff
	v_mul_f32_e32 v3, 0x4f7ffffe, v3
	v_cvt_u32_f32_e32 v3, v3
	s_delay_alu instid0(VALU_DEP_1) | instskip(SKIP_2) | instid1(VALU_DEP_3)
	v_readfirstlane_b32 s1, v3
	v_add_nc_u32_e32 v3, v1, v4
	v_lshlrev_b64 v[0:1], 2, v[1:2]
	s_mul_i32 s2, s2, s1
	s_delay_alu instid0(VALU_DEP_2) | instskip(SKIP_1) | instid1(SALU_CYCLE_1)
	v_ashrrev_i32_e32 v3, 3, v3
	s_mul_hi_u32 s2, s1, s2
	s_add_i32 s1, s1, s2
	s_xor_b32 s2, s15, s10
	s_mul_hi_u32 s1, s21, s1
	s_ashr_i32 s2, s2, 31
	s_mul_i32 s22, s1, s0
	v_ashrrev_i32_e32 v4, 31, v3
	s_sub_i32 s21, s21, s22
	s_add_i32 s22, s1, 1
	s_sub_i32 s23, s21, s0
	s_cmp_ge_u32 s21, s0
	v_lshlrev_b64 v[3:4], 2, v[3:4]
	s_cselect_b32 s1, s22, s1
	s_cselect_b32 s21, s23, s21
	s_add_i32 s22, s1, 1
	s_cmp_ge_u32 s21, s0
	s_cselect_b32 s0, s22, s1
	s_delay_alu instid0(SALU_CYCLE_1) | instskip(NEXT) | instid1(SALU_CYCLE_1)
	s_xor_b32 s0, s0, s2
	s_sub_i32 s21, s0, s2
	s_mov_b32 s2, s9
	s_mul_i32 s0, s21, s9
	s_mul_i32 s22, s21, s11
	s_ashr_i32 s1, s0, 31
	s_delay_alu instid0(SALU_CYCLE_1) | instskip(NEXT) | instid1(SALU_CYCLE_1)
	s_lshl_b64 s[0:1], s[0:1], 1
	s_add_u32 s0, s4, s0
	s_addc_u32 s1, s5, s1
	s_ashr_i32 s23, s22, 31
	v_add_co_u32 v5, vcc_lo, s0, v8
	v_add_co_ci_u32_e32 v6, vcc_lo, s1, v9, vcc_lo
	s_lshl_b64 s[0:1], s[22:23], 2
	s_delay_alu instid0(SALU_CYCLE_1)
	s_add_u32 s0, s18, s0
	s_addc_u32 s1, s19, s1
	v_add_co_u32 v10, vcc_lo, s0, v3
	v_add_co_ci_u32_e32 v11, vcc_lo, s1, v4, vcc_lo
	global_load_b64 v[5:6], v[5:6], off
	v_add_co_u32 v12, vcc_lo, s4, v8
	global_load_b32 v7, v[10:11], off
	v_add_co_ci_u32_e32 v13, vcc_lo, s5, v9, vcc_lo
	v_add_co_u32 v15, vcc_lo, s18, v3
	v_add_co_ci_u32_e32 v16, vcc_lo, s19, v4, vcc_lo
	s_ashr_i32 s0, s15, 3
	s_delay_alu instid0(SALU_CYCLE_1) | instskip(NEXT) | instid1(SALU_CYCLE_1)
	s_mul_i32 s0, s0, s9
	s_ashr_i32 s1, s0, 31
	s_delay_alu instid0(SALU_CYCLE_1) | instskip(NEXT) | instid1(SALU_CYCLE_1)
	s_lshl_b64 s[0:1], s[0:1], 2
	s_add_u32 s4, s16, s0
	s_addc_u32 s5, s17, s1
	s_lshl_b64 s[0:1], s[2:3], 2
	v_add_co_u32 v10, vcc_lo, s4, v0
	v_add_co_ci_u32_e32 v11, vcc_lo, s5, v1, vcc_lo
	s_add_i32 s16, s21, 1
	s_lshl_b64 s[2:3], s[2:3], 4
	s_mul_i32 s4, s16, s10
	s_mov_b32 s5, 0xf000f
	s_mov_b32 s16, 0xf000f0
	s_waitcnt vmcnt(1)
	v_alignbit_b32 v0, s0, v6, 16
	v_alignbit_b32 v1, s0, v5, 16
	v_perm_b32 v23, v6, v6, 0x7060302
	s_waitcnt vmcnt(0)
	v_lshrrev_b32_e32 v2, v17, v7
	v_bfe_u32 v3, v7, v14, 4
	v_pk_mul_f16 v24, 0x2c00, v6 op_sel:[0,1] op_sel_hi:[0,1]
	v_perm_b32 v21, v6, v6, 0x5040100
	v_pk_mul_f16 v22, 0x2c00, v6 op_sel_hi:[0,0]
	v_bfe_u32 v4, v2, 12, 4
	v_bfe_u32 v7, v2, 8, 4
	v_bfe_u32 v2, v2, 4, 4
	v_add_nc_u32_e32 v3, s12, v3
	v_perm_b32 v18, v5, v5, 0x7060302
	v_add_nc_u32_e32 v4, s12, v4
	v_add_nc_u32_e32 v7, s12, v7
	;; [unrolled: 1-line block ×3, first 2 shown]
	v_or_b32_e32 v25, 0xffffe400, v3
	v_cvt_f32_i32_e32 v3, v3
	v_or_b32_e32 v26, 0xffffe400, v4
	v_or_b32_e32 v27, 0xffffe400, v7
	;; [unrolled: 1-line block ×3, first 2 shown]
	v_cvt_f32_i32_e32 v4, v4
	v_cvt_f32_i32_e32 v7, v7
	;; [unrolled: 1-line block ×3, first 2 shown]
	v_cvt_f16_f32_e32 v3, v3
	v_pk_mul_f16 v25, v5, v25
	v_cvt_f16_f32_e32 v4, v4
	v_cvt_f16_f32_e32 v7, v7
	;; [unrolled: 1-line block ×3, first 2 shown]
	v_sub_f16_e32 v3, 0xd400, v3
	v_pk_mul_f16 v26, v0, v26
	v_sub_f16_e32 v4, 0xd400, v4
	v_sub_f16_e32 v7, 0xd400, v7
	;; [unrolled: 1-line block ×3, first 2 shown]
	v_pk_mul_f16 v29, v6, v27
	v_pk_mul_f16 v28, v1, v28
	;; [unrolled: 1-line block ×6, first 2 shown]
	v_pk_mul_f16 v20, 0x2c00, v5 op_sel:[0,1] op_sel_hi:[0,1]
	v_perm_b32 v17, v5, v5, 0x5040100
	v_pk_mul_f16 v19, 0x2c00, v5 op_sel_hi:[0,0]
	v_pack_b32_f16 v25, v25, v25
	v_pack_b32_f16 v27, v26, v26
	;; [unrolled: 1-line block ×8, first 2 shown]
	s_branch .LBB0_10
.LBB0_9:                                ;   in Loop: Header=BB0_10 Depth=1
	global_load_b128 v[0:3], v[10:11], off
	v_add_co_u32 v4, vcc_lo, v10, s0
	v_add_co_ci_u32_e32 v5, vcc_lo, s1, v11, vcc_lo
	s_add_i32 s15, s15, 32
	v_mov_b32_e32 v73, 0
	global_load_b128 v[37:40], v[4:5], off
	v_add_co_u32 v4, vcc_lo, v4, s0
	v_add_co_ci_u32_e32 v5, vcc_lo, s1, v5, vcc_lo
	global_load_b128 v[41:44], v[4:5], off
	v_add_co_u32 v4, vcc_lo, v4, s0
	v_add_co_ci_u32_e32 v5, vcc_lo, s1, v5, vcc_lo
	v_add_co_u32 v10, vcc_lo, v10, s2
	v_add_co_ci_u32_e32 v11, vcc_lo, s3, v11, vcc_lo
	global_load_b128 v[4:7], v[4:5], off
	s_waitcnt vmcnt(3)
	v_and_or_b32 v45, v0, s5, 0x64006400
	v_and_or_b32 v46, v0, s16, 0x64006400
	v_lshrrev_b32_e32 v0, 8, v0
	s_delay_alu instid0(VALU_DEP_3) | instskip(SKIP_1) | instid1(VALU_DEP_3)
	v_pk_fma_f16 v57, v45, v17, v25
	v_and_or_b32 v45, v1, s16, 0x64006400
	v_and_or_b32 v47, v0, s5, 0x64006400
	;; [unrolled: 1-line block ×3, first 2 shown]
	v_pk_fma_f16 v58, v46, v19, v29
	s_delay_alu instid0(VALU_DEP_4) | instskip(NEXT) | instid1(VALU_DEP_4)
	v_pk_fma_f16 v62, v45, v20, v30
	v_pk_fma_f16 v59, v47, v17, v25
	s_delay_alu instid0(VALU_DEP_4) | instskip(SKIP_2) | instid1(VALU_DEP_2)
	v_pk_fma_f16 v60, v0, v19, v29
	v_and_or_b32 v0, v1, s5, 0x64006400
	v_lshrrev_b32_e32 v1, 8, v1
	v_pk_fma_f16 v61, v0, v18, v28
	s_delay_alu instid0(VALU_DEP_2) | instskip(SKIP_2) | instid1(VALU_DEP_3)
	v_and_or_b32 v46, v1, s5, 0x64006400
	v_and_or_b32 v1, v1, s16, 0x64006400
	;; [unrolled: 1-line block ×3, first 2 shown]
	v_pk_fma_f16 v63, v46, v18, v28
	s_delay_alu instid0(VALU_DEP_3) | instskip(SKIP_4) | instid1(VALU_DEP_4)
	v_pk_fma_f16 v64, v1, v20, v30
	v_and_or_b32 v1, v2, s16, 0x64006400
	v_lshrrev_b32_e32 v2, 8, v2
	v_pk_fma_f16 v65, v0, v21, v26
	v_and_or_b32 v0, v3, s5, 0x64006400
	v_pk_fma_f16 v66, v1, v22, v31
	s_delay_alu instid0(VALU_DEP_4)
	v_and_or_b32 v45, v2, s5, 0x64006400
	v_and_or_b32 v2, v2, s16, 0x64006400
	;; [unrolled: 1-line block ×3, first 2 shown]
	v_pk_fma_f16 v69, v0, v23, v27
	v_mov_b32_e32 v0, s13
	v_pk_fma_f16 v67, v45, v21, v26
	v_pk_fma_f16 v68, v2, v22, v31
	v_lshrrev_b32_e32 v2, 8, v3
	v_pk_fma_f16 v70, v1, v24, v32
	s_add_i32 s13, s13, 64
	s_cmp_lt_i32 s15, s20
	s_delay_alu instid0(VALU_DEP_2) | instskip(SKIP_1) | instid1(VALU_DEP_2)
	v_and_or_b32 v3, v2, s5, 0x64006400
	v_and_or_b32 v2, v2, s16, 0x64006400
	v_pk_fma_f16 v71, v3, v23, v27
	s_delay_alu instid0(VALU_DEP_2)
	v_pk_fma_f16 v72, v2, v24, v32
	ds_load_b128 v[45:48], v0
	ds_load_b128 v[49:52], v0 offset:16
	ds_load_b128 v[53:56], v0 offset:32
	ds_load_b128 v[0:3], v0 offset:48
	s_waitcnt lgkmcnt(3)
	v_dot2acc_f32_f16 v73, v57, v45
	v_mov_b32_e32 v57, 0
	s_delay_alu instid0(VALU_DEP_1) | instskip(NEXT) | instid1(VALU_DEP_1)
	v_dot2acc_f32_f16 v57, v61, v45
	v_dot2acc_f32_f16 v57, v62, v46
	s_waitcnt vmcnt(2)
	v_and_or_b32 v62, v40, s5, 0x64006400
	s_delay_alu instid0(VALU_DEP_2) | instskip(SKIP_2) | instid1(VALU_DEP_4)
	v_dot2acc_f32_f16 v57, v63, v47
	v_and_or_b32 v63, v40, s16, 0x64006400
	v_lshrrev_b32_e32 v40, 8, v40
	v_pk_fma_f16 v62, v62, v23, v27
	s_delay_alu instid0(VALU_DEP_4) | instskip(NEXT) | instid1(VALU_DEP_4)
	v_dot2acc_f32_f16 v57, v64, v48
	v_pk_fma_f16 v63, v63, v24, v32
	s_delay_alu instid0(VALU_DEP_4) | instskip(SKIP_1) | instid1(VALU_DEP_4)
	v_and_or_b32 v64, v40, s5, 0x64006400
	v_and_or_b32 v40, v40, s16, 0x64006400
	v_dual_add_f32 v34, v57, v34 :: v_dual_mov_b32 v57, 0
	s_delay_alu instid0(VALU_DEP_3) | instskip(NEXT) | instid1(VALU_DEP_3)
	v_pk_fma_f16 v64, v64, v23, v27
	v_pk_fma_f16 v40, v40, v24, v32
	s_delay_alu instid0(VALU_DEP_3) | instskip(SKIP_1) | instid1(VALU_DEP_2)
	v_dot2acc_f32_f16 v57, v65, v45
	v_mov_b32_e32 v65, 0
	v_dot2acc_f32_f16 v57, v66, v46
	s_delay_alu instid0(VALU_DEP_1) | instskip(NEXT) | instid1(VALU_DEP_1)
	v_dot2acc_f32_f16 v57, v67, v47
	v_dot2acc_f32_f16 v57, v68, v48
	s_delay_alu instid0(VALU_DEP_1) | instskip(SKIP_1) | instid1(VALU_DEP_1)
	v_add_f32_e32 v33, v57, v33
	v_mov_b32_e32 v57, 0
	v_dot2acc_f32_f16 v57, v69, v45
	v_and_or_b32 v45, v37, s5, 0x64006400
	s_delay_alu instid0(VALU_DEP_2) | instskip(NEXT) | instid1(VALU_DEP_2)
	v_dot2acc_f32_f16 v57, v70, v46
	v_pk_fma_f16 v45, v45, v17, v25
	s_delay_alu instid0(VALU_DEP_2) | instskip(SKIP_1) | instid1(VALU_DEP_2)
	v_dot2acc_f32_f16 v57, v71, v47
	s_waitcnt lgkmcnt(2)
	v_dot2acc_f32_f16 v65, v45, v49
	s_waitcnt vmcnt(1)
	v_and_or_b32 v45, v42, s16, 0x64006400
	v_dot2acc_f32_f16 v57, v72, v48
	v_dot2acc_f32_f16 v73, v58, v46
	v_and_or_b32 v46, v37, s16, 0x64006400
	v_lshrrev_b32_e32 v37, 8, v37
	v_pk_fma_f16 v45, v45, v20, v30
	s_delay_alu instid0(VALU_DEP_4) | instskip(NEXT) | instid1(VALU_DEP_4)
	v_dual_add_f32 v36, v57, v36 :: v_dual_dot2acc_f32_f16 v73, v59, v47
	v_pk_fma_f16 v46, v46, v19, v29
	s_delay_alu instid0(VALU_DEP_4)
	v_and_or_b32 v47, v37, s5, 0x64006400
	v_and_or_b32 v37, v37, s16, 0x64006400
	;; [unrolled: 1-line block ×3, first 2 shown]
	v_dot2acc_f32_f16 v73, v60, v48
	v_dot2acc_f32_f16 v65, v46, v50
	v_pk_fma_f16 v47, v47, v17, v25
	v_pk_fma_f16 v37, v37, v19, v29
	v_and_or_b32 v48, v38, s5, 0x64006400
	v_lshrrev_b32_e32 v38, 8, v38
	v_pk_fma_f16 v57, v57, v20, v30
	v_dot2acc_f32_f16 v65, v47, v51
	v_and_or_b32 v59, v39, s5, 0x64006400
	v_pk_fma_f16 v48, v48, v18, v28
	v_and_or_b32 v58, v38, s5, 0x64006400
	v_and_or_b32 v38, v38, s16, 0x64006400
	v_dot2acc_f32_f16 v65, v37, v52
	v_mov_b32_e32 v37, 0
	v_and_or_b32 v60, v39, s16, 0x64006400
	v_pk_fma_f16 v58, v58, v18, v28
	v_pk_fma_f16 v38, v38, v20, v30
	v_lshrrev_b32_e32 v39, 8, v39
	v_dot2acc_f32_f16 v37, v48, v49
	v_pk_fma_f16 v59, v59, v21, v26
	v_pk_fma_f16 v60, v60, v22, v31
	v_and_or_b32 v47, v43, s5, 0x64006400
	v_and_or_b32 v61, v39, s5, 0x64006400
	v_dot2acc_f32_f16 v37, v57, v50
	v_and_or_b32 v39, v39, s16, 0x64006400
	v_mov_b32_e32 v57, 0
	v_and_or_b32 v48, v43, s16, 0x64006400
	v_pk_fma_f16 v61, v61, v21, v26
	v_dot2acc_f32_f16 v37, v58, v51
	v_pk_fma_f16 v39, v39, v22, v31
	v_lshrrev_b32_e32 v43, 8, v43
	v_pk_fma_f16 v47, v47, v21, v26
	v_pk_fma_f16 v48, v48, v22, v31
	v_dot2acc_f32_f16 v37, v38, v52
	v_and_or_b32 v38, v41, s16, 0x64006400
	s_delay_alu instid0(VALU_DEP_2) | instskip(NEXT) | instid1(VALU_DEP_2)
	v_dual_add_f32 v34, v37, v34 :: v_dual_mov_b32 v37, 0
	v_pk_fma_f16 v38, v38, v19, v29
	s_delay_alu instid0(VALU_DEP_2) | instskip(NEXT) | instid1(VALU_DEP_1)
	v_dot2acc_f32_f16 v37, v59, v49
	v_dot2acc_f32_f16 v37, v60, v50
	s_delay_alu instid0(VALU_DEP_1) | instskip(NEXT) | instid1(VALU_DEP_1)
	v_dot2acc_f32_f16 v37, v61, v51
	v_dot2acc_f32_f16 v37, v39, v52
	v_lshrrev_b32_e32 v39, 8, v41
	s_delay_alu instid0(VALU_DEP_2) | instskip(SKIP_1) | instid1(VALU_DEP_1)
	v_add_f32_e32 v33, v37, v33
	v_mov_b32_e32 v37, 0
	v_dot2acc_f32_f16 v37, v62, v49
	v_and_or_b32 v49, v43, s5, 0x64006400
	v_and_or_b32 v43, v43, s16, 0x64006400
	s_delay_alu instid0(VALU_DEP_3) | instskip(NEXT) | instid1(VALU_DEP_3)
	v_dot2acc_f32_f16 v37, v63, v50
	v_pk_fma_f16 v49, v49, v21, v26
	s_delay_alu instid0(VALU_DEP_3) | instskip(SKIP_1) | instid1(VALU_DEP_4)
	v_pk_fma_f16 v43, v43, v22, v31
	v_and_or_b32 v50, v44, s5, 0x64006400
	v_dot2acc_f32_f16 v37, v64, v51
	v_and_or_b32 v51, v44, s16, 0x64006400
	v_lshrrev_b32_e32 v44, 8, v44
	s_delay_alu instid0(VALU_DEP_4) | instskip(NEXT) | instid1(VALU_DEP_4)
	v_pk_fma_f16 v50, v50, v23, v27
	v_dot2acc_f32_f16 v37, v40, v52
	s_delay_alu instid0(VALU_DEP_4) | instskip(NEXT) | instid1(VALU_DEP_4)
	v_pk_fma_f16 v51, v51, v24, v32
	v_and_or_b32 v52, v44, s5, 0x64006400
	v_and_or_b32 v44, v44, s16, 0x64006400
	;; [unrolled: 1-line block ×3, first 2 shown]
	v_add_f32_e32 v36, v37, v36
	v_and_or_b32 v37, v41, s5, 0x64006400
	v_and_or_b32 v41, v42, s5, 0x64006400
	v_lshrrev_b32_e32 v42, 8, v42
	v_pk_fma_f16 v52, v52, v23, v27
	v_pk_fma_f16 v44, v44, v24, v32
	;; [unrolled: 1-line block ×4, first 2 shown]
	v_and_or_b32 v46, v42, s5, 0x64006400
	v_and_or_b32 v42, v42, s16, 0x64006400
	;; [unrolled: 1-line block ×3, first 2 shown]
	s_waitcnt lgkmcnt(1)
	v_dot2acc_f32_f16 v57, v37, v53
	v_mov_b32_e32 v37, 0
	v_pk_fma_f16 v46, v46, v18, v28
	v_pk_fma_f16 v42, v42, v20, v30
	;; [unrolled: 1-line block ×3, first 2 shown]
	v_dot2acc_f32_f16 v57, v38, v54
	v_dot2acc_f32_f16 v37, v41, v53
	v_pk_fma_f16 v39, v39, v19, v29
	s_waitcnt vmcnt(0)
	v_and_or_b32 v38, v4, s16, 0x64006400
	v_and_or_b32 v41, v5, s16, 0x64006400
	v_dot2acc_f32_f16 v57, v40, v55
	v_dot2acc_f32_f16 v37, v45, v54
	v_and_or_b32 v40, v5, s5, 0x64006400
	v_pk_fma_f16 v38, v38, v19, v29
	v_lshrrev_b32_e32 v5, 8, v5
	v_dot2acc_f32_f16 v57, v39, v56
	v_dot2acc_f32_f16 v37, v46, v55
	v_pk_fma_f16 v40, v40, v18, v28
	v_pk_fma_f16 v41, v41, v20, v30
	v_and_or_b32 v46, v7, s5, 0x64006400
	s_delay_alu instid0(VALU_DEP_4) | instskip(SKIP_2) | instid1(VALU_DEP_4)
	v_dot2acc_f32_f16 v37, v42, v56
	v_and_or_b32 v42, v5, s5, 0x64006400
	v_and_or_b32 v5, v5, s16, 0x64006400
	v_pk_fma_f16 v46, v46, v23, v27
	s_delay_alu instid0(VALU_DEP_4) | instskip(NEXT) | instid1(VALU_DEP_4)
	v_dual_add_f32 v34, v37, v34 :: v_dual_mov_b32 v37, 0
	v_pk_fma_f16 v42, v42, v18, v28
	s_delay_alu instid0(VALU_DEP_4) | instskip(NEXT) | instid1(VALU_DEP_3)
	v_pk_fma_f16 v5, v5, v20, v30
	v_dot2acc_f32_f16 v37, v47, v53
	v_and_or_b32 v47, v7, s16, 0x64006400
	v_lshrrev_b32_e32 v7, 8, v7
	s_delay_alu instid0(VALU_DEP_3) | instskip(NEXT) | instid1(VALU_DEP_3)
	v_dot2acc_f32_f16 v37, v48, v54
	v_pk_fma_f16 v47, v47, v24, v32
	s_delay_alu instid0(VALU_DEP_3) | instskip(SKIP_1) | instid1(VALU_DEP_4)
	v_and_or_b32 v48, v7, s5, 0x64006400
	v_and_or_b32 v7, v7, s16, 0x64006400
	v_dot2acc_f32_f16 v37, v49, v55
	v_mov_b32_e32 v49, 0
	s_delay_alu instid0(VALU_DEP_4) | instskip(NEXT) | instid1(VALU_DEP_4)
	v_pk_fma_f16 v48, v48, v23, v27
	v_pk_fma_f16 v7, v7, v24, v32
	s_delay_alu instid0(VALU_DEP_4) | instskip(SKIP_1) | instid1(VALU_DEP_2)
	v_dot2acc_f32_f16 v37, v43, v56
	v_and_or_b32 v43, v6, s5, 0x64006400
	v_add_f32_e32 v33, v37, v33
	v_mov_b32_e32 v37, 0
	s_delay_alu instid0(VALU_DEP_3) | instskip(NEXT) | instid1(VALU_DEP_2)
	v_pk_fma_f16 v43, v43, v21, v26
	v_dot2acc_f32_f16 v37, v50, v53
	s_delay_alu instid0(VALU_DEP_1) | instskip(NEXT) | instid1(VALU_DEP_1)
	v_dot2acc_f32_f16 v37, v51, v54
	v_dot2acc_f32_f16 v37, v52, v55
	s_delay_alu instid0(VALU_DEP_1) | instskip(SKIP_3) | instid1(VALU_DEP_4)
	v_dot2acc_f32_f16 v37, v44, v56
	v_add_f32_e32 v35, v35, v73
	v_and_or_b32 v44, v6, s16, 0x64006400
	v_lshrrev_b32_e32 v6, 8, v6
	v_add_f32_e32 v36, v37, v36
	v_and_or_b32 v37, v4, s5, 0x64006400
	v_lshrrev_b32_e32 v4, 8, v4
	s_delay_alu instid0(VALU_DEP_4)
	v_and_or_b32 v45, v6, s5, 0x64006400
	v_pk_fma_f16 v44, v44, v22, v31
	v_and_or_b32 v6, v6, s16, 0x64006400
	v_pk_fma_f16 v37, v37, v17, v25
	v_and_or_b32 v39, v4, s5, 0x64006400
	v_and_or_b32 v4, v4, s16, 0x64006400
	v_pk_fma_f16 v45, v45, v21, v26
	v_pk_fma_f16 v6, v6, v22, v31
	s_waitcnt lgkmcnt(0)
	v_dot2acc_f32_f16 v49, v37, v0
	v_pk_fma_f16 v39, v39, v17, v25
	v_pk_fma_f16 v4, v4, v19, v29
	v_add_f32_e32 v35, v35, v65
	s_delay_alu instid0(VALU_DEP_4) | instskip(NEXT) | instid1(VALU_DEP_2)
	v_dot2acc_f32_f16 v49, v38, v1
	v_add_f32_e32 v35, v35, v57
	s_delay_alu instid0(VALU_DEP_2) | instskip(NEXT) | instid1(VALU_DEP_1)
	v_dot2acc_f32_f16 v49, v39, v2
	v_dual_dot2acc_f32_f16 v49, v4, v3 :: v_dual_mov_b32 v4, 0
	s_delay_alu instid0(VALU_DEP_1) | instskip(NEXT) | instid1(VALU_DEP_1)
	v_dual_add_f32 v35, v35, v49 :: v_dual_dot2acc_f32_f16 v4, v40, v0
	v_dot2acc_f32_f16 v4, v41, v1
	s_delay_alu instid0(VALU_DEP_1) | instskip(NEXT) | instid1(VALU_DEP_1)
	v_dot2acc_f32_f16 v4, v42, v2
	v_dot2acc_f32_f16 v4, v5, v3
	s_delay_alu instid0(VALU_DEP_1) | instskip(SKIP_1) | instid1(VALU_DEP_1)
	v_add_f32_e32 v34, v4, v34
	v_mov_b32_e32 v4, 0
	v_dot2acc_f32_f16 v4, v43, v0
	s_delay_alu instid0(VALU_DEP_1) | instskip(NEXT) | instid1(VALU_DEP_1)
	v_dot2acc_f32_f16 v4, v44, v1
	v_dot2acc_f32_f16 v4, v45, v2
	s_delay_alu instid0(VALU_DEP_1) | instskip(NEXT) | instid1(VALU_DEP_1)
	v_dot2acc_f32_f16 v4, v6, v3
	v_dual_add_f32 v33, v4, v33 :: v_dual_mov_b32 v4, 0
	s_delay_alu instid0(VALU_DEP_1) | instskip(NEXT) | instid1(VALU_DEP_1)
	v_dot2acc_f32_f16 v4, v46, v0
	v_dot2acc_f32_f16 v4, v47, v1
	s_delay_alu instid0(VALU_DEP_1) | instskip(NEXT) | instid1(VALU_DEP_1)
	v_dot2acc_f32_f16 v4, v48, v2
	v_dot2acc_f32_f16 v4, v7, v3
	s_delay_alu instid0(VALU_DEP_1)
	v_add_f32_e32 v36, v4, v36
	s_cbranch_scc0 .LBB0_12
.LBB0_10:                               ; =>This Inner Loop Header: Depth=1
	s_cmp_lg_u32 s15, s4
	s_cbranch_scc1 .LBB0_9
; %bb.11:                               ;   in Loop: Header=BB0_10 Depth=1
	s_add_i32 s21, s21, 1
	s_add_i32 s4, s4, s10
	s_mul_i32 s18, s21, s11
	s_mul_i32 s22, s21, s9
	s_ashr_i32 s19, s18, 31
	s_ashr_i32 s23, s22, 31
	s_lshl_b64 s[18:19], s[18:19], 2
	s_delay_alu instid0(SALU_CYCLE_1) | instskip(SKIP_2) | instid1(SALU_CYCLE_1)
	v_add_co_u32 v0, vcc_lo, v15, s18
	v_add_co_ci_u32_e32 v1, vcc_lo, s19, v16, vcc_lo
	s_lshl_b64 s[18:19], s[22:23], 1
	v_add_co_u32 v2, vcc_lo, v12, s18
	v_add_co_ci_u32_e32 v3, vcc_lo, s19, v13, vcc_lo
	global_load_b32 v4, v[0:1], off
	global_load_b64 v[0:1], v[2:3], off
	s_waitcnt vmcnt(1)
	v_lshrrev_b32_e32 v2, v14, v4
	v_bfe_u32 v3, v4, v14, 4
	s_waitcnt vmcnt(0)
	v_alignbit_b32 v4, s0, v0, 16
	v_alignbit_b32 v5, s0, v1, 16
	v_perm_b32 v17, v0, v0, 0x5040100
	v_bfe_u32 v6, v2, 4, 4
	v_add_nc_u32_e32 v3, s12, v3
	v_bfe_u32 v7, v2, 8, 4
	v_bfe_u32 v2, v2, 12, 4
	v_pk_mul_f16 v19, 0x2c00, v0 op_sel_hi:[0,0]
	v_add_nc_u32_e32 v6, s12, v6
	v_cvt_f32_i32_e32 v24, v3
	v_or_b32_e32 v3, 0xffffe400, v3
	v_add_nc_u32_e32 v7, s12, v7
	v_add_nc_u32_e32 v2, s12, v2
	v_or_b32_e32 v26, 0xffffe400, v6
	v_cvt_f32_i32_e32 v6, v6
	v_pk_mul_f16 v3, v0, v3
	v_or_b32_e32 v27, 0xffffe400, v7
	v_cvt_f32_i32_e32 v7, v7
	v_or_b32_e32 v28, 0xffffe400, v2
	v_cvt_f32_i32_e32 v2, v2
	v_cvt_f16_f32_e32 v24, v24
	v_pack_b32_f16 v25, v3, v3
	v_cvt_f16_f32_e32 v3, v6
	v_cvt_f16_f32_e32 v7, v7
	;; [unrolled: 1-line block ×3, first 2 shown]
	v_sub_f16_e32 v24, 0xd400, v24
	v_perm_b32 v18, v0, v0, 0x7060302
	v_sub_f16_e32 v3, 0xd400, v3
	v_sub_f16_e32 v7, 0xd400, v7
	;; [unrolled: 1-line block ×3, first 2 shown]
	v_pk_mul_f16 v20, 0x2c00, v0 op_sel:[0,1] op_sel_hi:[0,1]
	v_pk_mul_f16 v6, v4, v26
	v_pk_mul_f16 v26, v1, v27
	;; [unrolled: 1-line block ×7, first 2 shown]
	v_perm_b32 v21, v1, v1, 0x5040100
	v_pk_mul_f16 v22, 0x2c00, v1 op_sel_hi:[0,0]
	v_perm_b32 v23, v1, v1, 0x7060302
	v_pack_b32_f16 v28, v6, v6
	v_pack_b32_f16 v26, v26, v26
	;; [unrolled: 1-line block ×7, first 2 shown]
	v_pk_mul_f16 v24, 0x2c00, v1 op_sel:[0,1] op_sel_hi:[0,1]
	s_branch .LBB0_9
.LBB0_12:
	v_cvt_f16_f32_e32 v6, v35
	v_cvt_f16_f32_e32 v11, v34
	;; [unrolled: 1-line block ×4, first 2 shown]
.LBB0_13:
	s_cmp_ge_i32 s14, s8
	s_cbranch_scc1 .LBB0_16
; %bb.14:
	s_mul_i32 s0, s14, s9
	v_perm_b32 v6, v11, v6, 0x5040100
	s_ashr_i32 s1, s0, 31
	v_perm_b32 v7, v7, v10, 0x5040100
	s_lshl_b64 s[0:1], s[0:1], 1
	s_delay_alu instid0(SALU_CYCLE_1)
	s_add_u32 s0, s6, s0
	s_addc_u32 s1, s7, s1
	v_add_co_u32 v4, vcc_lo, s0, v8
	v_add_co_ci_u32_e32 v5, vcc_lo, s1, v9, vcc_lo
	s_mov_b32 s0, 0
	global_load_b64 v[2:3], v[4:5], off
.LBB0_15:                               ; =>This Inner Loop Header: Depth=1
	s_waitcnt vmcnt(0)
	v_pk_add_f16 v0, v6, v2
	v_pk_add_f16 v1, v7, v3
	global_atomic_cmpswap_b64 v[0:1], v[4:5], v[0:3], off glc
	s_waitcnt vmcnt(0)
	v_cmp_eq_u64_e32 vcc_lo, v[0:1], v[2:3]
	v_dual_mov_b32 v3, v1 :: v_dual_mov_b32 v2, v0
	s_or_b32 s0, vcc_lo, s0
	s_delay_alu instid0(SALU_CYCLE_1)
	s_and_not1_b32 exec_lo, exec_lo, s0
	s_cbranch_execnz .LBB0_15
.LBB0_16:
	s_endpgm
	.section	.rodata,"a",@progbits
	.p2align	6, 0x0
	.amdhsa_kernel _ZN4vllm10gptq_rdna320gemm_q4_kernel_rdna3I6__halfLi1EEEvPKT_PKjS7_S5_PS3_iiiiiPKi
		.amdhsa_group_segment_fixed_size 528
		.amdhsa_private_segment_fixed_size 0
		.amdhsa_kernarg_size 72
		.amdhsa_user_sgpr_count 13
		.amdhsa_user_sgpr_dispatch_ptr 0
		.amdhsa_user_sgpr_queue_ptr 0
		.amdhsa_user_sgpr_kernarg_segment_ptr 1
		.amdhsa_user_sgpr_dispatch_id 0
		.amdhsa_user_sgpr_private_segment_size 0
		.amdhsa_wavefront_size32 1
		.amdhsa_uses_dynamic_stack 0
		.amdhsa_enable_private_segment 0
		.amdhsa_system_sgpr_workgroup_id_x 1
		.amdhsa_system_sgpr_workgroup_id_y 1
		.amdhsa_system_sgpr_workgroup_id_z 1
		.amdhsa_system_sgpr_workgroup_info 0
		.amdhsa_system_vgpr_workitem_id 0
		.amdhsa_next_free_vgpr 74
		.amdhsa_next_free_sgpr 24
		.amdhsa_reserve_vcc 1
		.amdhsa_float_round_mode_32 0
		.amdhsa_float_round_mode_16_64 0
		.amdhsa_float_denorm_mode_32 3
		.amdhsa_float_denorm_mode_16_64 3
		.amdhsa_dx10_clamp 1
		.amdhsa_ieee_mode 1
		.amdhsa_fp16_overflow 0
		.amdhsa_workgroup_processor_mode 1
		.amdhsa_memory_ordered 1
		.amdhsa_forward_progress 0
		.amdhsa_shared_vgpr_count 0
		.amdhsa_exception_fp_ieee_invalid_op 0
		.amdhsa_exception_fp_denorm_src 0
		.amdhsa_exception_fp_ieee_div_zero 0
		.amdhsa_exception_fp_ieee_overflow 0
		.amdhsa_exception_fp_ieee_underflow 0
		.amdhsa_exception_fp_ieee_inexact 0
		.amdhsa_exception_int_div_zero 0
	.end_amdhsa_kernel
	.section	.text._ZN4vllm10gptq_rdna320gemm_q4_kernel_rdna3I6__halfLi1EEEvPKT_PKjS7_S5_PS3_iiiiiPKi,"axG",@progbits,_ZN4vllm10gptq_rdna320gemm_q4_kernel_rdna3I6__halfLi1EEEvPKT_PKjS7_S5_PS3_iiiiiPKi,comdat
.Lfunc_end0:
	.size	_ZN4vllm10gptq_rdna320gemm_q4_kernel_rdna3I6__halfLi1EEEvPKT_PKjS7_S5_PS3_iiiiiPKi, .Lfunc_end0-_ZN4vllm10gptq_rdna320gemm_q4_kernel_rdna3I6__halfLi1EEEvPKT_PKjS7_S5_PS3_iiiiiPKi
                                        ; -- End function
	.section	.AMDGPU.csdata,"",@progbits
; Kernel info:
; codeLenInByte = 3984
; NumSgprs: 26
; NumVgprs: 74
; ScratchSize: 0
; MemoryBound: 0
; FloatMode: 240
; IeeeMode: 1
; LDSByteSize: 528 bytes/workgroup (compile time only)
; SGPRBlocks: 3
; VGPRBlocks: 9
; NumSGPRsForWavesPerEU: 26
; NumVGPRsForWavesPerEU: 74
; Occupancy: 16
; WaveLimiterHint : 0
; COMPUTE_PGM_RSRC2:SCRATCH_EN: 0
; COMPUTE_PGM_RSRC2:USER_SGPR: 13
; COMPUTE_PGM_RSRC2:TRAP_HANDLER: 0
; COMPUTE_PGM_RSRC2:TGID_X_EN: 1
; COMPUTE_PGM_RSRC2:TGID_Y_EN: 1
; COMPUTE_PGM_RSRC2:TGID_Z_EN: 1
; COMPUTE_PGM_RSRC2:TIDIG_COMP_CNT: 0
	.section	.text._ZN4vllm10gptq_rdna320gemm_q4_kernel_rdna3I6__halfLi2EEEvPKT_PKjS7_S5_PS3_iiiiiPKi,"axG",@progbits,_ZN4vllm10gptq_rdna320gemm_q4_kernel_rdna3I6__halfLi2EEEvPKT_PKjS7_S5_PS3_iiiiiPKi,comdat
	.protected	_ZN4vllm10gptq_rdna320gemm_q4_kernel_rdna3I6__halfLi2EEEvPKT_PKjS7_S5_PS3_iiiiiPKi ; -- Begin function _ZN4vllm10gptq_rdna320gemm_q4_kernel_rdna3I6__halfLi2EEEvPKT_PKjS7_S5_PS3_iiiiiPKi
	.globl	_ZN4vllm10gptq_rdna320gemm_q4_kernel_rdna3I6__halfLi2EEEvPKT_PKjS7_S5_PS3_iiiiiPKi
	.p2align	8
	.type	_ZN4vllm10gptq_rdna320gemm_q4_kernel_rdna3I6__halfLi2EEEvPKT_PKjS7_S5_PS3_iiiiiPKi,@function
_ZN4vllm10gptq_rdna320gemm_q4_kernel_rdna3I6__halfLi2EEEvPKT_PKjS7_S5_PS3_iiiiiPKi: ; @_ZN4vllm10gptq_rdna320gemm_q4_kernel_rdna3I6__halfLi2EEEvPKT_PKjS7_S5_PS3_iiiiiPKi
; %bb.0:
	s_clause 0x2
	s_load_b256 s[4:11], s[0:1], 0x18
	s_load_b128 s[16:19], s[0:1], 0x8
	s_load_b32 s20, s[0:1], 0x38
	s_lshl_b32 s15, s15, 8
	s_lshl_b32 s12, s14, 1
	v_add_nc_u32_e32 v1, s15, v0
	s_add_i32 s2, s15, 0x100
	s_waitcnt lgkmcnt(0)
	s_min_i32 s21, s2, s10
	s_mov_b32 s2, exec_lo
	v_cmpx_gt_i32_e64 s21, v1
	s_cbranch_execz .LBB1_10
; %bb.1:
	s_clause 0x1
	s_load_b64 s[22:23], s[0:1], 0x40
	s_load_b64 s[0:1], s[0:1], 0x0
	v_ashrrev_i32_e32 v2, 31, v1
	v_mov_b32_e32 v6, 0
	s_delay_alu instid0(VALU_DEP_2) | instskip(SKIP_2) | instid1(VALU_DEP_1)
	v_lshlrev_b64 v[3:4], 2, v[1:2]
	s_waitcnt lgkmcnt(0)
	s_cmp_lg_u64 s[22:23], 0
	v_add_co_u32 v3, vcc_lo, s22, v3
	s_cselect_b32 s3, -1, 0
	s_delay_alu instid0(VALU_DEP_2) | instskip(SKIP_2) | instid1(VALU_DEP_1)
	v_add_co_ci_u32_e32 v4, vcc_lo, s23, v4, vcc_lo
	v_cndmask_b32_e64 v5, 0, 1, s3
	s_cmp_ge_i32 s12, s8
	v_cmp_ne_u32_e32 vcc_lo, 1, v5
	s_cbranch_scc1 .LBB1_5
; %bb.2:
	v_dual_mov_b32 v6, v2 :: v_dual_mov_b32 v5, v1
	s_and_b32 vcc_lo, exec_lo, vcc_lo
	s_cbranch_vccnz .LBB1_4
; %bb.3:
	global_load_b32 v5, v[3:4], off
	s_waitcnt vmcnt(0)
	v_ashrrev_i32_e32 v6, 31, v5
.LBB1_4:
	s_mul_i32 s22, s12, s10
	s_delay_alu instid0(VALU_DEP_1) | instskip(SKIP_1) | instid1(SALU_CYCLE_1)
	v_lshlrev_b64 v[5:6], 1, v[5:6]
	s_ashr_i32 s23, s22, 31
	s_lshl_b64 s[22:23], s[22:23], 1
	s_delay_alu instid0(SALU_CYCLE_1) | instskip(SKIP_1) | instid1(VALU_DEP_1)
	s_add_u32 s14, s0, s22
	s_addc_u32 s22, s1, s23
	v_add_co_u32 v5, vcc_lo, s14, v5
	v_add_co_ci_u32_e32 v6, vcc_lo, s22, v6, vcc_lo
	global_load_u16 v6, v[5:6], off
.LBB1_5:
	v_lshlrev_b32_e32 v5, 1, v0
	v_mov_b32_e32 v7, 0
	s_or_b32 s14, s12, 1
	s_delay_alu instid0(SALU_CYCLE_1)
	s_cmp_ge_i32 s14, s8
	s_waitcnt vmcnt(0)
	ds_store_b16 v5, v6
	s_cbranch_scc1 .LBB1_9
; %bb.6:
	s_and_not1_b32 vcc_lo, exec_lo, s3
	s_cbranch_vccnz .LBB1_8
; %bb.7:
	global_load_b32 v1, v[3:4], off
	s_waitcnt vmcnt(0)
	v_ashrrev_i32_e32 v2, 31, v1
.LBB1_8:
	s_mul_i32 s22, s14, s10
	s_delay_alu instid0(VALU_DEP_1) | instskip(SKIP_1) | instid1(SALU_CYCLE_1)
	v_lshlrev_b64 v[1:2], 1, v[1:2]
	s_ashr_i32 s23, s22, 31
	s_lshl_b64 s[22:23], s[22:23], 1
	s_delay_alu instid0(SALU_CYCLE_1) | instskip(SKIP_1) | instid1(VALU_DEP_1)
	s_add_u32 s0, s0, s22
	s_addc_u32 s1, s1, s23
	v_add_co_u32 v1, vcc_lo, s0, v1
	v_add_co_ci_u32_e32 v2, vcc_lo, s1, v2, vcc_lo
	global_load_u16 v7, v[1:2], off
.LBB1_9:
	s_waitcnt vmcnt(0)
	ds_store_b16 v5, v7 offset:528
.LBB1_10:
	s_or_b32 exec_lo, exec_lo, s2
	v_lshlrev_b32_e32 v1, 2, v0
	s_waitcnt lgkmcnt(0)
	s_barrier
	buffer_gl0_inv
	s_mov_b32 s0, exec_lo
	v_lshl_add_u32 v1, s13, 10, v1
	s_delay_alu instid0(VALU_DEP_1)
	v_cmpx_gt_i32_e64 s9, v1
	s_cbranch_execz .LBB1_24
; %bb.11:
	s_abs_i32 s0, s11
	v_dual_mov_b32 v7, 0 :: v_dual_mov_b32 v8, 0
	v_cvt_f32_u32_e32 v2, s0
	v_dual_mov_b32 v9, 0 :: v_dual_mov_b32 v12, 0
	v_dual_mov_b32 v13, 0 :: v_dual_mov_b32 v14, 0
	s_delay_alu instid0(VALU_DEP_3)
	v_rcp_iflag_f32_e32 v3, v2
	v_ashrrev_i32_e32 v2, 31, v1
	v_mov_b32_e32 v15, 0
	s_cmp_ge_i32 s15, s10
	s_mov_b32 s13, 0
	v_mov_b32_e32 v6, 0
	v_lshlrev_b64 v[16:17], 1, v[1:2]
	s_waitcnt_depctr 0xfff
	v_mul_f32_e32 v3, 0x4f7ffffe, v3
	s_delay_alu instid0(VALU_DEP_1) | instskip(NEXT) | instid1(VALU_DEP_1)
	v_cvt_u32_f32_e32 v3, v3
	v_readfirstlane_b32 s1, v3
	s_cbranch_scc0 .LBB1_14
; %bb.12:
	v_add_co_u32 v10, vcc_lo, s6, v16
	v_add_co_ci_u32_e32 v11, vcc_lo, s7, v17, vcc_lo
	s_cmp_lt_i32 s12, s8
	s_cbranch_scc1 .LBB1_19
.LBB1_13:
	s_or_b32 s0, s12, 1
	s_delay_alu instid0(SALU_CYCLE_1)
	s_cmp_ge_i32 s0, s8
	s_cbranch_scc0 .LBB1_22
	s_branch .LBB1_24
.LBB1_14:
	s_sub_i32 s2, 0, s0
	s_abs_i32 s3, s10
	s_delay_alu instid0(VALU_DEP_1)
	s_mul_i32 s2, s2, s1
	v_lshrrev_b32_e32 v4, 29, v2
	s_mul_hi_u32 s2, s1, s2
	v_dual_mov_b32 v43, 0 :: v_dual_mov_b32 v42, 0
	s_add_i32 s1, s1, s2
	s_ashr_i32 s2, s10, 31
	s_mul_hi_u32 s1, s3, s1
	s_ashr_i32 s10, s11, 31
	s_mul_i32 s11, s1, s0
	s_xor_b32 s2, s2, s10
	s_sub_i32 s3, s3, s11
	s_add_i32 s10, s1, 1
	s_sub_i32 s11, s3, s0
	s_cmp_ge_u32 s3, s0
	v_dual_mov_b32 v41, 0 :: v_dual_mov_b32 v46, 0
	s_cselect_b32 s1, s10, s1
	s_cselect_b32 s3, s11, s3
	s_add_i32 s10, s1, 1
	s_cmp_ge_u32 s3, s0
	v_dual_mov_b32 v47, 0 :: v_dual_mov_b32 v48, 0
	s_cselect_b32 s0, s10, s1
	s_abs_i32 s14, s15
	s_xor_b32 s0, s0, s2
	s_ashr_i32 s1, s9, 31
	s_sub_i32 s10, s0, s2
	s_lshr_b32 s11, s1, 29
	s_abs_i32 s0, s10
	s_add_i32 s11, s9, s11
	v_cvt_f32_u32_e32 v3, s0
	s_sub_i32 s3, 0, s0
	s_ashr_i32 s11, s11, 3
	v_dual_mov_b32 v44, 0 :: v_dual_mov_b32 v49, 0
	s_delay_alu instid0(VALU_DEP_2) | instskip(SKIP_2) | instid1(VALU_DEP_1)
	v_rcp_iflag_f32_e32 v3, v3
	s_waitcnt_depctr 0xfff
	v_mul_f32_e32 v3, 0x4f7ffffe, v3
	v_cvt_u32_f32_e32 v3, v3
	s_delay_alu instid0(VALU_DEP_1) | instskip(SKIP_1) | instid1(VALU_DEP_2)
	v_readfirstlane_b32 s2, v3
	v_add_nc_u32_e32 v3, v1, v4
	s_mul_i32 s3, s3, s2
	s_delay_alu instid0(VALU_DEP_1) | instskip(SKIP_1) | instid1(SALU_CYCLE_1)
	v_ashrrev_i32_e32 v3, 3, v3
	s_mul_hi_u32 s3, s2, s3
	s_add_i32 s2, s2, s3
	s_xor_b32 s3, s15, s10
	s_mul_hi_u32 s2, s14, s2
	s_ashr_i32 s3, s3, 31
	s_mul_i32 s22, s2, s0
	v_ashrrev_i32_e32 v4, 31, v3
	s_sub_i32 s14, s14, s22
	s_add_i32 s22, s2, 1
	s_sub_i32 s23, s14, s0
	s_cmp_ge_u32 s14, s0
	v_lshlrev_b64 v[3:4], 2, v[3:4]
	s_cselect_b32 s2, s22, s2
	s_cselect_b32 s14, s23, s14
	s_add_i32 s22, s2, 1
	s_cmp_ge_u32 s14, s0
	s_cselect_b32 s0, s22, s2
	s_delay_alu instid0(SALU_CYCLE_1) | instskip(NEXT) | instid1(SALU_CYCLE_1)
	s_xor_b32 s0, s0, s3
	s_sub_i32 s14, s0, s3
	s_delay_alu instid0(SALU_CYCLE_1) | instskip(SKIP_2) | instid1(SALU_CYCLE_1)
	s_mul_i32 s2, s14, s9
	s_mul_i32 s22, s14, s11
	s_ashr_i32 s3, s2, 31
	s_lshl_b64 s[2:3], s[2:3], 1
	s_delay_alu instid0(SALU_CYCLE_1)
	s_add_u32 s0, s4, s2
	s_addc_u32 s2, s5, s3
	s_ashr_i32 s23, s22, 31
	v_add_co_u32 v5, vcc_lo, s0, v16
	v_add_co_ci_u32_e32 v6, vcc_lo, s2, v17, vcc_lo
	s_lshl_b64 s[2:3], s[22:23], 2
	s_delay_alu instid0(SALU_CYCLE_1)
	s_add_u32 s0, s18, s2
	s_addc_u32 s2, s19, s3
	v_add_co_u32 v7, vcc_lo, s0, v3
	v_add_co_ci_u32_e32 v8, vcc_lo, s2, v4, vcc_lo
	global_load_b64 v[5:6], v[5:6], off
	v_add_co_u32 v20, vcc_lo, s4, v16
	global_load_b32 v7, v[7:8], off
	v_lshlrev_b32_e32 v8, 4, v0
	v_lshlrev_b64 v[0:1], 2, v[1:2]
	v_add_co_ci_u32_e32 v21, vcc_lo, s5, v17, vcc_lo
	v_add_co_u32 v23, vcc_lo, s18, v3
	s_delay_alu instid0(VALU_DEP_4) | instskip(SKIP_4) | instid1(SALU_CYCLE_1)
	v_and_b32_e32 v22, 16, v8
	v_add_co_ci_u32_e32 v24, vcc_lo, s19, v4, vcc_lo
	s_ashr_i32 s2, s15, 3
	s_mov_b32 s0, s9
	s_mul_i32 s2, s2, s9
	s_ashr_i32 s3, s2, 31
	s_delay_alu instid0(SALU_CYCLE_1) | instskip(NEXT) | instid1(SALU_CYCLE_1)
	s_lshl_b64 s[2:3], s[2:3], 2
	s_add_u32 s4, s16, s2
	s_addc_u32 s3, s17, s3
	s_lshl_b64 s[0:1], s[0:1], 2
	v_add_co_u32 v18, vcc_lo, s4, v0
	v_add_co_ci_u32_e32 v19, vcc_lo, s3, v1, vcc_lo
	s_lshl_b32 s2, s9, 2
	s_add_i32 s5, s14, 1
	s_ashr_i32 s3, s2, 31
	s_mul_i32 s4, s5, s10
	s_lshl_b64 s[2:3], s[2:3], 2
	s_mov_b32 s5, 0xf000f
	s_mov_b32 s16, 0xf000f0
	s_waitcnt vmcnt(1)
	v_alignbit_b32 v0, s0, v6, 16
	v_alignbit_b32 v1, s0, v5, 16
	v_perm_b32 v31, v6, v6, 0x7060302
	s_waitcnt vmcnt(0)
	v_lshrrev_b32_e32 v2, v8, v7
	v_bfe_u32 v3, v7, v22, 4
	v_pk_mul_f16 v32, 0x2c00, v6 op_sel:[0,1] op_sel_hi:[0,1]
	v_perm_b32 v29, v6, v6, 0x5040100
	v_pk_mul_f16 v30, 0x2c00, v6 op_sel_hi:[0,0]
	v_bfe_u32 v4, v2, 12, 4
	v_bfe_u32 v7, v2, 8, 4
	;; [unrolled: 1-line block ×3, first 2 shown]
	v_add_nc_u32_e32 v3, s20, v3
	v_perm_b32 v26, v5, v5, 0x7060302
	v_add_nc_u32_e32 v4, s20, v4
	v_add_nc_u32_e32 v7, s20, v7
	;; [unrolled: 1-line block ×3, first 2 shown]
	v_or_b32_e32 v8, 0xffffe400, v3
	v_cvt_f32_i32_e32 v3, v3
	v_or_b32_e32 v9, 0xffffe400, v4
	v_or_b32_e32 v10, 0xffffe400, v7
	;; [unrolled: 1-line block ×3, first 2 shown]
	v_cvt_f32_i32_e32 v4, v4
	v_cvt_f32_i32_e32 v7, v7
	;; [unrolled: 1-line block ×3, first 2 shown]
	v_cvt_f16_f32_e32 v3, v3
	v_pk_mul_f16 v8, v5, v8
	v_cvt_f16_f32_e32 v4, v4
	v_cvt_f16_f32_e32 v7, v7
	;; [unrolled: 1-line block ×3, first 2 shown]
	v_sub_f16_e32 v3, 0xd400, v3
	v_pk_mul_f16 v9, v0, v9
	v_sub_f16_e32 v4, 0xd400, v4
	v_sub_f16_e32 v7, 0xd400, v7
	;; [unrolled: 1-line block ×3, first 2 shown]
	v_pk_mul_f16 v10, v6, v10
	v_pk_mul_f16 v11, v1, v11
	;; [unrolled: 1-line block ×6, first 2 shown]
	v_pk_mul_f16 v28, 0x2c00, v5 op_sel:[0,1] op_sel_hi:[0,1]
	v_perm_b32 v25, v5, v5, 0x5040100
	v_pk_mul_f16 v27, 0x2c00, v5 op_sel_hi:[0,0]
	v_pack_b32_f16 v33, v8, v8
	v_pack_b32_f16 v35, v9, v9
	;; [unrolled: 1-line block ×8, first 2 shown]
	s_branch .LBB1_16
.LBB1_15:                               ;   in Loop: Header=BB1_16 Depth=1
	global_load_b128 v[4:7], v[18:19], off
	v_add_co_u32 v0, vcc_lo, v18, s0
	v_add_co_ci_u32_e32 v1, vcc_lo, s1, v19, vcc_lo
	v_dual_mov_b32 v45, s13 :: v_dual_mov_b32 v78, 0
	s_add_i32 s15, s15, 32
	global_load_b128 v[50:53], v[0:1], off
	v_add_co_u32 v0, vcc_lo, v0, s0
	v_add_co_ci_u32_e32 v1, vcc_lo, s1, v1, vcc_lo
	s_add_i32 s13, s13, 64
	s_cmp_ge_i32 s15, s21
	global_load_b128 v[8:11], v[0:1], off
	v_add_co_u32 v0, vcc_lo, v0, s0
	v_add_co_ci_u32_e32 v1, vcc_lo, s1, v1, vcc_lo
	v_add_co_u32 v18, vcc_lo, v18, s2
	v_add_co_ci_u32_e32 v19, vcc_lo, s3, v19, vcc_lo
	global_load_b128 v[0:3], v[0:1], off
	s_waitcnt vmcnt(3)
	v_and_or_b32 v12, v4, s5, 0x64006400
	v_and_or_b32 v13, v4, s16, 0x64006400
	v_lshrrev_b32_e32 v4, 8, v4
	s_delay_alu instid0(VALU_DEP_3) | instskip(SKIP_1) | instid1(VALU_DEP_3)
	v_pk_fma_f16 v62, v12, v25, v33
	v_and_or_b32 v12, v5, s16, 0x64006400
	v_and_or_b32 v14, v4, s5, 0x64006400
	;; [unrolled: 1-line block ×3, first 2 shown]
	v_pk_fma_f16 v63, v13, v27, v37
	s_delay_alu instid0(VALU_DEP_4) | instskip(NEXT) | instid1(VALU_DEP_4)
	v_pk_fma_f16 v67, v12, v28, v38
	v_pk_fma_f16 v64, v14, v25, v33
	s_delay_alu instid0(VALU_DEP_4) | instskip(SKIP_2) | instid1(VALU_DEP_2)
	v_pk_fma_f16 v65, v4, v27, v37
	v_and_or_b32 v4, v5, s5, 0x64006400
	v_lshrrev_b32_e32 v5, 8, v5
	v_pk_fma_f16 v66, v4, v26, v36
	s_delay_alu instid0(VALU_DEP_2) | instskip(SKIP_2) | instid1(VALU_DEP_3)
	v_and_or_b32 v13, v5, s5, 0x64006400
	v_and_or_b32 v5, v5, s16, 0x64006400
	;; [unrolled: 1-line block ×3, first 2 shown]
	v_pk_fma_f16 v68, v13, v26, v36
	s_delay_alu instid0(VALU_DEP_3) | instskip(SKIP_4) | instid1(VALU_DEP_4)
	v_pk_fma_f16 v69, v5, v28, v38
	v_and_or_b32 v5, v6, s16, 0x64006400
	v_lshrrev_b32_e32 v6, 8, v6
	v_pk_fma_f16 v70, v4, v29, v34
	v_and_or_b32 v4, v7, s5, 0x64006400
	v_pk_fma_f16 v71, v5, v30, v39
	s_delay_alu instid0(VALU_DEP_4) | instskip(SKIP_3) | instid1(VALU_DEP_4)
	v_and_or_b32 v12, v6, s5, 0x64006400
	v_and_or_b32 v6, v6, s16, 0x64006400
	;; [unrolled: 1-line block ×3, first 2 shown]
	v_pk_fma_f16 v74, v4, v31, v35
	v_pk_fma_f16 v72, v12, v29, v34
	s_delay_alu instid0(VALU_DEP_4) | instskip(SKIP_2) | instid1(VALU_DEP_2)
	v_pk_fma_f16 v73, v6, v30, v39
	v_lshrrev_b32_e32 v6, 8, v7
	v_pk_fma_f16 v75, v5, v32, v40
	v_and_or_b32 v7, v6, s5, 0x64006400
	v_and_or_b32 v6, v6, s16, 0x64006400
	s_delay_alu instid0(VALU_DEP_2) | instskip(NEXT) | instid1(VALU_DEP_2)
	v_pk_fma_f16 v76, v7, v31, v35
	v_pk_fma_f16 v77, v6, v32, v40
	ds_load_b128 v[54:57], v45
	ds_load_b128 v[58:61], v45 offset:16
	ds_load_b128 v[12:15], v45 offset:32
	;; [unrolled: 1-line block ×3, first 2 shown]
	s_waitcnt lgkmcnt(3)
	v_dot2acc_f32_f16 v78, v62, v54
	s_delay_alu instid0(VALU_DEP_1) | instskip(NEXT) | instid1(VALU_DEP_1)
	v_dot2acc_f32_f16 v78, v63, v55
	v_dot2acc_f32_f16 v78, v64, v56
	s_delay_alu instid0(VALU_DEP_1) | instskip(NEXT) | instid1(VALU_DEP_1)
	v_dot2acc_f32_f16 v78, v65, v57
	v_add_f32_e32 v78, v44, v78
	v_mov_b32_e32 v44, 0
	s_delay_alu instid0(VALU_DEP_1) | instskip(NEXT) | instid1(VALU_DEP_1)
	v_dot2acc_f32_f16 v44, v66, v54
	v_dot2acc_f32_f16 v44, v67, v55
	s_delay_alu instid0(VALU_DEP_1) | instskip(NEXT) | instid1(VALU_DEP_1)
	v_dot2acc_f32_f16 v44, v68, v56
	v_dot2acc_f32_f16 v44, v69, v57
	s_delay_alu instid0(VALU_DEP_1) | instskip(SKIP_1) | instid1(VALU_DEP_1)
	v_add_f32_e32 v79, v44, v43
	v_mov_b32_e32 v43, 0
	v_dot2acc_f32_f16 v43, v70, v54
	s_delay_alu instid0(VALU_DEP_1) | instskip(NEXT) | instid1(VALU_DEP_1)
	v_dot2acc_f32_f16 v43, v71, v55
	v_dot2acc_f32_f16 v43, v72, v56
	s_delay_alu instid0(VALU_DEP_1) | instskip(NEXT) | instid1(VALU_DEP_1)
	v_dot2acc_f32_f16 v43, v73, v57
	v_add_f32_e32 v80, v43, v42
	v_mov_b32_e32 v42, 0
	s_delay_alu instid0(VALU_DEP_1) | instskip(NEXT) | instid1(VALU_DEP_1)
	v_dot2acc_f32_f16 v42, v74, v54
	v_dual_dot2acc_f32_f16 v42, v75, v55 :: v_dual_mov_b32 v55, 0
	s_delay_alu instid0(VALU_DEP_1) | instskip(NEXT) | instid1(VALU_DEP_1)
	v_dot2acc_f32_f16 v42, v76, v56
	v_dot2acc_f32_f16 v42, v77, v57
	s_delay_alu instid0(VALU_DEP_1) | instskip(SKIP_3) | instid1(VALU_DEP_1)
	v_add_f32_e32 v54, v42, v41
	ds_load_b128 v[41:44], v45 offset:528
	s_waitcnt lgkmcnt(0)
	v_dot2acc_f32_f16 v55, v62, v41
	v_dot2acc_f32_f16 v55, v63, v42
	s_delay_alu instid0(VALU_DEP_1) | instskip(NEXT) | instid1(VALU_DEP_1)
	v_dot2acc_f32_f16 v55, v64, v43
	v_dot2acc_f32_f16 v55, v65, v44
	s_delay_alu instid0(VALU_DEP_1) | instskip(NEXT) | instid1(VALU_DEP_1)
	v_dual_add_f32 v46, v46, v55 :: v_dual_mov_b32 v55, 0
	v_dot2acc_f32_f16 v55, v66, v41
	s_delay_alu instid0(VALU_DEP_1) | instskip(NEXT) | instid1(VALU_DEP_1)
	v_dot2acc_f32_f16 v55, v67, v42
	v_dot2acc_f32_f16 v55, v68, v43
	s_delay_alu instid0(VALU_DEP_1) | instskip(NEXT) | instid1(VALU_DEP_1)
	v_dot2acc_f32_f16 v55, v69, v44
	v_add_f32_e32 v47, v55, v47
	v_mov_b32_e32 v55, 0
	s_delay_alu instid0(VALU_DEP_1) | instskip(NEXT) | instid1(VALU_DEP_1)
	v_dot2acc_f32_f16 v55, v70, v41
	v_dot2acc_f32_f16 v55, v71, v42
	s_delay_alu instid0(VALU_DEP_1) | instskip(NEXT) | instid1(VALU_DEP_1)
	v_dot2acc_f32_f16 v55, v72, v43
	v_dot2acc_f32_f16 v55, v73, v44
	s_delay_alu instid0(VALU_DEP_1) | instskip(NEXT) | instid1(VALU_DEP_1)
	v_dual_add_f32 v48, v55, v48 :: v_dual_mov_b32 v55, 0
	v_dot2acc_f32_f16 v55, v74, v41
	s_waitcnt vmcnt(2)
	v_and_or_b32 v41, v50, s5, 0x64006400
	s_delay_alu instid0(VALU_DEP_2) | instskip(SKIP_1) | instid1(VALU_DEP_2)
	v_dot2acc_f32_f16 v55, v75, v42
	v_and_or_b32 v42, v50, s16, 0x64006400
	v_dot2acc_f32_f16 v55, v76, v43
	v_lshrrev_b32_e32 v43, 8, v50
	v_pk_fma_f16 v50, v41, v25, v33
	v_and_or_b32 v41, v51, s5, 0x64006400
	s_delay_alu instid0(VALU_DEP_4) | instskip(NEXT) | instid1(VALU_DEP_4)
	v_dot2acc_f32_f16 v55, v77, v44
	v_and_or_b32 v44, v43, s5, 0x64006400
	v_and_or_b32 v43, v43, s16, 0x64006400
	s_delay_alu instid0(VALU_DEP_3) | instskip(NEXT) | instid1(VALU_DEP_3)
	v_add_f32_e32 v49, v55, v49
	v_pk_fma_f16 v56, v44, v25, v33
	s_delay_alu instid0(VALU_DEP_3)
	v_pk_fma_f16 v57, v43, v27, v37
	v_lshrrev_b32_e32 v43, 8, v51
	v_pk_fma_f16 v55, v42, v27, v37
	v_and_or_b32 v42, v51, s16, 0x64006400
	v_pk_fma_f16 v51, v41, v26, v36
	v_and_or_b32 v41, v52, s5, 0x64006400
	v_and_or_b32 v44, v43, s5, 0x64006400
	;; [unrolled: 1-line block ×3, first 2 shown]
	v_pk_fma_f16 v62, v42, v28, v38
	v_and_or_b32 v42, v52, s16, 0x64006400
	s_delay_alu instid0(VALU_DEP_4) | instskip(NEXT) | instid1(VALU_DEP_4)
	v_pk_fma_f16 v63, v44, v26, v36
	v_pk_fma_f16 v64, v43, v28, v38
	v_lshrrev_b32_e32 v43, 8, v52
	v_pk_fma_f16 v52, v41, v29, v34
	v_and_or_b32 v41, v53, s5, 0x64006400
	v_pk_fma_f16 v65, v42, v30, v39
	v_and_or_b32 v42, v53, s16, 0x64006400
	v_and_or_b32 v44, v43, s5, 0x64006400
	;; [unrolled: 1-line block ×3, first 2 shown]
	s_delay_alu instid0(VALU_DEP_3) | instskip(NEXT) | instid1(VALU_DEP_3)
	v_pk_fma_f16 v68, v42, v32, v40
	v_pk_fma_f16 v66, v44, v29, v34
	s_delay_alu instid0(VALU_DEP_3) | instskip(SKIP_3) | instid1(VALU_DEP_3)
	v_pk_fma_f16 v67, v43, v30, v39
	v_lshrrev_b32_e32 v43, 8, v53
	v_pk_fma_f16 v53, v41, v31, v35
	v_mov_b32_e32 v41, 0
	v_and_or_b32 v44, v43, s5, 0x64006400
	v_and_or_b32 v43, v43, s16, 0x64006400
	s_delay_alu instid0(VALU_DEP_3) | instskip(NEXT) | instid1(VALU_DEP_3)
	v_dot2acc_f32_f16 v41, v50, v58
	v_pk_fma_f16 v69, v44, v31, v35
	s_delay_alu instid0(VALU_DEP_3) | instskip(NEXT) | instid1(VALU_DEP_3)
	v_pk_fma_f16 v70, v43, v32, v40
	v_dot2acc_f32_f16 v41, v55, v59
	s_delay_alu instid0(VALU_DEP_1) | instskip(NEXT) | instid1(VALU_DEP_1)
	v_dot2acc_f32_f16 v41, v56, v60
	v_dot2acc_f32_f16 v41, v57, v61
	s_delay_alu instid0(VALU_DEP_1) | instskip(SKIP_1) | instid1(VALU_DEP_1)
	v_add_f32_e32 v71, v78, v41
	v_mov_b32_e32 v41, 0
	v_dot2acc_f32_f16 v41, v51, v58
	s_delay_alu instid0(VALU_DEP_1) | instskip(NEXT) | instid1(VALU_DEP_1)
	v_dot2acc_f32_f16 v41, v62, v59
	v_dot2acc_f32_f16 v41, v63, v60
	s_delay_alu instid0(VALU_DEP_1) | instskip(NEXT) | instid1(VALU_DEP_1)
	v_dot2acc_f32_f16 v41, v64, v61
	v_dual_add_f32 v72, v41, v79 :: v_dual_mov_b32 v41, 0
	s_delay_alu instid0(VALU_DEP_1) | instskip(NEXT) | instid1(VALU_DEP_1)
	v_dot2acc_f32_f16 v41, v52, v58
	v_dot2acc_f32_f16 v41, v65, v59
	s_delay_alu instid0(VALU_DEP_1) | instskip(NEXT) | instid1(VALU_DEP_1)
	v_dot2acc_f32_f16 v41, v66, v60
	v_dot2acc_f32_f16 v41, v67, v61
	s_delay_alu instid0(VALU_DEP_1) | instskip(SKIP_1) | instid1(VALU_DEP_1)
	v_add_f32_e32 v73, v41, v80
	v_mov_b32_e32 v41, 0
	v_dual_dot2acc_f32_f16 v41, v53, v58 :: v_dual_mov_b32 v58, 0
	s_delay_alu instid0(VALU_DEP_1) | instskip(NEXT) | instid1(VALU_DEP_1)
	v_dot2acc_f32_f16 v41, v68, v59
	v_dot2acc_f32_f16 v41, v69, v60
	s_delay_alu instid0(VALU_DEP_1) | instskip(NEXT) | instid1(VALU_DEP_1)
	v_dot2acc_f32_f16 v41, v70, v61
	v_add_f32_e32 v54, v41, v54
	ds_load_b128 v[41:44], v45 offset:544
	s_waitcnt lgkmcnt(0)
	v_dot2acc_f32_f16 v58, v50, v41
	v_mov_b32_e32 v50, 0
	s_delay_alu instid0(VALU_DEP_2) | instskip(NEXT) | instid1(VALU_DEP_2)
	v_dot2acc_f32_f16 v58, v55, v42
	v_dot2acc_f32_f16 v50, v51, v41
	s_delay_alu instid0(VALU_DEP_2) | instskip(NEXT) | instid1(VALU_DEP_2)
	v_dot2acc_f32_f16 v58, v56, v43
	v_dot2acc_f32_f16 v50, v62, v42
	;; [unrolled: 3-line block ×3, first 2 shown]
	s_delay_alu instid0(VALU_DEP_2) | instskip(NEXT) | instid1(VALU_DEP_2)
	v_add_f32_e32 v46, v46, v58
	v_dot2acc_f32_f16 v50, v64, v44
	s_delay_alu instid0(VALU_DEP_1) | instskip(NEXT) | instid1(VALU_DEP_1)
	v_dual_add_f32 v47, v50, v47 :: v_dual_mov_b32 v50, 0
	v_dot2acc_f32_f16 v50, v52, v41
	s_delay_alu instid0(VALU_DEP_1) | instskip(NEXT) | instid1(VALU_DEP_1)
	v_dot2acc_f32_f16 v50, v65, v42
	v_dot2acc_f32_f16 v50, v66, v43
	s_delay_alu instid0(VALU_DEP_1) | instskip(NEXT) | instid1(VALU_DEP_1)
	v_dot2acc_f32_f16 v50, v67, v44
	v_add_f32_e32 v48, v50, v48
	v_mov_b32_e32 v50, 0
	s_delay_alu instid0(VALU_DEP_1) | instskip(NEXT) | instid1(VALU_DEP_1)
	v_dot2acc_f32_f16 v50, v53, v41
	v_dot2acc_f32_f16 v50, v68, v42
	s_waitcnt vmcnt(1)
	v_and_or_b32 v42, v8, s5, 0x64006400
	s_delay_alu instid0(VALU_DEP_2) | instskip(SKIP_2) | instid1(VALU_DEP_4)
	v_dot2acc_f32_f16 v50, v69, v43
	v_and_or_b32 v43, v8, s16, 0x64006400
	v_lshrrev_b32_e32 v8, 8, v8
	v_pk_fma_f16 v42, v42, v25, v33
	s_delay_alu instid0(VALU_DEP_4) | instskip(NEXT) | instid1(VALU_DEP_4)
	v_dot2acc_f32_f16 v50, v70, v44
	v_pk_fma_f16 v43, v43, v27, v37
	s_delay_alu instid0(VALU_DEP_4) | instskip(SKIP_1) | instid1(VALU_DEP_4)
	v_and_or_b32 v44, v8, s5, 0x64006400
	v_and_or_b32 v8, v8, s16, 0x64006400
	v_add_f32_e32 v41, v50, v49
	v_and_or_b32 v50, v9, s16, 0x64006400
	s_delay_alu instid0(VALU_DEP_4) | instskip(NEXT) | instid1(VALU_DEP_4)
	v_pk_fma_f16 v44, v44, v25, v33
	v_pk_fma_f16 v49, v8, v27, v37
	v_and_or_b32 v8, v9, s5, 0x64006400
	v_lshrrev_b32_e32 v9, 8, v9
	v_pk_fma_f16 v50, v50, v28, v38
	s_delay_alu instid0(VALU_DEP_3) | instskip(SKIP_1) | instid1(VALU_DEP_4)
	v_pk_fma_f16 v52, v8, v26, v36
	v_and_or_b32 v8, v10, s5, 0x64006400
	v_and_or_b32 v51, v9, s5, 0x64006400
	;; [unrolled: 1-line block ×3, first 2 shown]
	s_delay_alu instid0(VALU_DEP_3) | instskip(SKIP_1) | instid1(VALU_DEP_4)
	v_pk_fma_f16 v56, v8, v29, v34
	v_and_or_b32 v8, v11, s5, 0x64006400
	v_pk_fma_f16 v51, v51, v26, v36
	s_delay_alu instid0(VALU_DEP_4) | instskip(SKIP_4) | instid1(VALU_DEP_4)
	v_pk_fma_f16 v53, v9, v28, v38
	v_and_or_b32 v9, v10, s16, 0x64006400
	v_lshrrev_b32_e32 v10, 8, v10
	v_pk_fma_f16 v59, v8, v31, v35
	v_mov_b32_e32 v8, 0
	v_pk_fma_f16 v57, v9, v30, v39
	s_delay_alu instid0(VALU_DEP_4) | instskip(SKIP_1) | instid1(VALU_DEP_4)
	v_and_or_b32 v55, v10, s5, 0x64006400
	v_and_or_b32 v10, v10, s16, 0x64006400
	v_dot2acc_f32_f16 v8, v42, v12
	v_and_or_b32 v9, v11, s16, 0x64006400
	s_delay_alu instid0(VALU_DEP_4) | instskip(NEXT) | instid1(VALU_DEP_4)
	v_pk_fma_f16 v55, v55, v29, v34
	v_pk_fma_f16 v58, v10, v30, v39
	s_delay_alu instid0(VALU_DEP_4) | instskip(SKIP_2) | instid1(VALU_DEP_3)
	v_dot2acc_f32_f16 v8, v43, v13
	v_lshrrev_b32_e32 v10, 8, v11
	v_pk_fma_f16 v60, v9, v32, v40
	v_dot2acc_f32_f16 v8, v44, v14
	s_delay_alu instid0(VALU_DEP_3) | instskip(SKIP_1) | instid1(VALU_DEP_3)
	v_and_or_b32 v11, v10, s5, 0x64006400
	v_and_or_b32 v10, v10, s16, 0x64006400
	v_dot2acc_f32_f16 v8, v49, v15
	s_delay_alu instid0(VALU_DEP_3) | instskip(NEXT) | instid1(VALU_DEP_3)
	v_pk_fma_f16 v61, v11, v31, v35
	v_pk_fma_f16 v62, v10, v32, v40
	s_delay_alu instid0(VALU_DEP_3) | instskip(NEXT) | instid1(VALU_DEP_1)
	v_dual_add_f32 v63, v71, v8 :: v_dual_mov_b32 v8, 0
	v_dot2acc_f32_f16 v8, v52, v12
	s_delay_alu instid0(VALU_DEP_1) | instskip(NEXT) | instid1(VALU_DEP_1)
	v_dot2acc_f32_f16 v8, v50, v13
	v_dot2acc_f32_f16 v8, v51, v14
	s_delay_alu instid0(VALU_DEP_1) | instskip(NEXT) | instid1(VALU_DEP_1)
	v_dot2acc_f32_f16 v8, v53, v15
	v_add_f32_e32 v64, v8, v72
	v_mov_b32_e32 v8, 0
	s_delay_alu instid0(VALU_DEP_1) | instskip(NEXT) | instid1(VALU_DEP_1)
	v_dot2acc_f32_f16 v8, v56, v12
	v_dot2acc_f32_f16 v8, v57, v13
	s_delay_alu instid0(VALU_DEP_1) | instskip(NEXT) | instid1(VALU_DEP_1)
	v_dot2acc_f32_f16 v8, v55, v14
	v_dot2acc_f32_f16 v8, v58, v15
	s_delay_alu instid0(VALU_DEP_1) | instskip(NEXT) | instid1(VALU_DEP_1)
	v_dual_add_f32 v65, v8, v73 :: v_dual_mov_b32 v8, 0
	v_dot2acc_f32_f16 v8, v59, v12
	s_delay_alu instid0(VALU_DEP_1) | instskip(NEXT) | instid1(VALU_DEP_1)
	v_dual_dot2acc_f32_f16 v8, v60, v13 :: v_dual_mov_b32 v13, 0
	v_dot2acc_f32_f16 v8, v61, v14
	s_delay_alu instid0(VALU_DEP_1) | instskip(NEXT) | instid1(VALU_DEP_1)
	v_dual_dot2acc_f32_f16 v8, v62, v15 :: v_dual_mov_b32 v15, 0
	v_add_f32_e32 v12, v8, v54
	ds_load_b128 v[8:11], v45 offset:560
	s_waitcnt lgkmcnt(0)
	v_dual_mov_b32 v14, 0 :: v_dual_dot2acc_f32_f16 v15, v56, v8
	v_dual_dot2acc_f32_f16 v13, v42, v8 :: v_dual_mov_b32 v42, 0
	s_delay_alu instid0(VALU_DEP_2) | instskip(NEXT) | instid1(VALU_DEP_2)
	v_dual_dot2acc_f32_f16 v14, v52, v8 :: v_dual_dot2acc_f32_f16 v15, v57, v9
	v_dot2acc_f32_f16 v13, v43, v9
	s_delay_alu instid0(VALU_DEP_3) | instskip(NEXT) | instid1(VALU_DEP_3)
	v_dot2acc_f32_f16 v42, v59, v8
	v_dual_dot2acc_f32_f16 v14, v50, v9 :: v_dual_dot2acc_f32_f16 v15, v55, v10
	s_delay_alu instid0(VALU_DEP_3) | instskip(NEXT) | instid1(VALU_DEP_3)
	v_dot2acc_f32_f16 v13, v44, v10
	v_dot2acc_f32_f16 v42, v60, v9
	s_delay_alu instid0(VALU_DEP_3)
	v_dot2acc_f32_f16 v14, v51, v10
	s_waitcnt vmcnt(0)
	v_and_or_b32 v9, v0, s5, 0x64006400
	v_dot2acc_f32_f16 v15, v58, v11
	v_dot2acc_f32_f16 v13, v49, v11
	;; [unrolled: 1-line block ×3, first 2 shown]
	v_and_or_b32 v10, v0, s16, 0x64006400
	v_lshrrev_b32_e32 v0, 8, v0
	v_pk_fma_f16 v9, v9, v25, v33
	v_add_f32_e32 v13, v46, v13
	v_dot2acc_f32_f16 v42, v62, v11
	v_pk_fma_f16 v10, v10, v27, v37
	s_delay_alu instid0(VALU_DEP_2) | instskip(SKIP_4) | instid1(VALU_DEP_4)
	v_dual_add_f32 v15, v15, v48 :: v_dual_add_f32 v8, v42, v41
	v_dot2acc_f32_f16 v14, v53, v11
	v_and_or_b32 v11, v0, s5, 0x64006400
	v_and_or_b32 v0, v0, s16, 0x64006400
	;; [unrolled: 1-line block ×3, first 2 shown]
	v_add_f32_e32 v14, v14, v47
	s_delay_alu instid0(VALU_DEP_4) | instskip(NEXT) | instid1(VALU_DEP_4)
	v_pk_fma_f16 v11, v11, v25, v33
	v_pk_fma_f16 v46, v0, v27, v37
	v_and_or_b32 v0, v1, s5, 0x64006400
	v_lshrrev_b32_e32 v1, 8, v1
	v_pk_fma_f16 v48, v41, v28, v38
	s_delay_alu instid0(VALU_DEP_3) | instskip(SKIP_1) | instid1(VALU_DEP_4)
	v_pk_fma_f16 v47, v0, v26, v36
	v_and_or_b32 v0, v2, s5, 0x64006400
	v_and_or_b32 v42, v1, s5, 0x64006400
	;; [unrolled: 1-line block ×3, first 2 shown]
	s_delay_alu instid0(VALU_DEP_3) | instskip(SKIP_1) | instid1(VALU_DEP_4)
	v_pk_fma_f16 v51, v0, v29, v34
	v_and_or_b32 v0, v3, s5, 0x64006400
	v_pk_fma_f16 v49, v42, v26, v36
	s_delay_alu instid0(VALU_DEP_4) | instskip(SKIP_4) | instid1(VALU_DEP_4)
	v_pk_fma_f16 v50, v1, v28, v38
	v_and_or_b32 v1, v2, s16, 0x64006400
	v_lshrrev_b32_e32 v2, 8, v2
	v_pk_fma_f16 v55, v0, v31, v35
	v_mov_b32_e32 v0, 0
	v_pk_fma_f16 v52, v1, v30, v39
	s_delay_alu instid0(VALU_DEP_4) | instskip(SKIP_1) | instid1(VALU_DEP_4)
	v_and_or_b32 v41, v2, s5, 0x64006400
	v_and_or_b32 v2, v2, s16, 0x64006400
	v_dot2acc_f32_f16 v0, v9, v4
	v_and_or_b32 v1, v3, s16, 0x64006400
	s_delay_alu instid0(VALU_DEP_4) | instskip(NEXT) | instid1(VALU_DEP_4)
	v_pk_fma_f16 v53, v41, v29, v34
	v_pk_fma_f16 v54, v2, v30, v39
	s_delay_alu instid0(VALU_DEP_4) | instskip(SKIP_2) | instid1(VALU_DEP_3)
	v_dot2acc_f32_f16 v0, v10, v5
	v_lshrrev_b32_e32 v2, 8, v3
	v_pk_fma_f16 v56, v1, v32, v40
	v_dot2acc_f32_f16 v0, v11, v6
	s_delay_alu instid0(VALU_DEP_3) | instskip(SKIP_1) | instid1(VALU_DEP_3)
	v_and_or_b32 v3, v2, s5, 0x64006400
	v_and_or_b32 v2, v2, s16, 0x64006400
	v_dot2acc_f32_f16 v0, v46, v7
	s_delay_alu instid0(VALU_DEP_3) | instskip(NEXT) | instid1(VALU_DEP_3)
	v_pk_fma_f16 v57, v3, v31, v35
	v_pk_fma_f16 v58, v2, v32, v40
	s_delay_alu instid0(VALU_DEP_3) | instskip(SKIP_1) | instid1(VALU_DEP_1)
	v_add_f32_e32 v44, v63, v0
	v_mov_b32_e32 v0, 0
	v_dot2acc_f32_f16 v0, v47, v4
	s_delay_alu instid0(VALU_DEP_1) | instskip(NEXT) | instid1(VALU_DEP_1)
	v_dot2acc_f32_f16 v0, v48, v5
	v_dot2acc_f32_f16 v0, v49, v6
	s_delay_alu instid0(VALU_DEP_1) | instskip(NEXT) | instid1(VALU_DEP_1)
	v_dot2acc_f32_f16 v0, v50, v7
	v_dual_add_f32 v43, v0, v64 :: v_dual_mov_b32 v0, 0
	s_delay_alu instid0(VALU_DEP_1) | instskip(NEXT) | instid1(VALU_DEP_1)
	v_dot2acc_f32_f16 v0, v51, v4
	v_dot2acc_f32_f16 v0, v52, v5
	s_delay_alu instid0(VALU_DEP_1) | instskip(NEXT) | instid1(VALU_DEP_1)
	v_dot2acc_f32_f16 v0, v53, v6
	v_dot2acc_f32_f16 v0, v54, v7
	s_delay_alu instid0(VALU_DEP_1) | instskip(SKIP_1) | instid1(VALU_DEP_1)
	v_add_f32_e32 v42, v0, v65
	v_mov_b32_e32 v0, 0
	v_dot2acc_f32_f16 v0, v55, v4
	v_mov_b32_e32 v4, 0
	s_delay_alu instid0(VALU_DEP_2) | instskip(NEXT) | instid1(VALU_DEP_1)
	v_dot2acc_f32_f16 v0, v56, v5
	v_dot2acc_f32_f16 v0, v57, v6
	s_delay_alu instid0(VALU_DEP_1) | instskip(NEXT) | instid1(VALU_DEP_1)
	v_dot2acc_f32_f16 v0, v58, v7
	v_add_f32_e32 v41, v0, v12
	ds_load_b128 v[0:3], v45 offset:576
	s_waitcnt lgkmcnt(0)
	v_dot2acc_f32_f16 v4, v9, v0
	s_delay_alu instid0(VALU_DEP_1) | instskip(NEXT) | instid1(VALU_DEP_1)
	v_dot2acc_f32_f16 v4, v10, v1
	v_dot2acc_f32_f16 v4, v11, v2
	s_delay_alu instid0(VALU_DEP_1) | instskip(NEXT) | instid1(VALU_DEP_1)
	v_dot2acc_f32_f16 v4, v46, v3
	v_add_f32_e32 v46, v13, v4
	v_mov_b32_e32 v4, 0
	s_delay_alu instid0(VALU_DEP_1) | instskip(NEXT) | instid1(VALU_DEP_1)
	v_dot2acc_f32_f16 v4, v47, v0
	v_dot2acc_f32_f16 v4, v48, v1
	s_delay_alu instid0(VALU_DEP_1) | instskip(NEXT) | instid1(VALU_DEP_1)
	v_dot2acc_f32_f16 v4, v49, v2
	v_dot2acc_f32_f16 v4, v50, v3
	s_delay_alu instid0(VALU_DEP_1) | instskip(NEXT) | instid1(VALU_DEP_1)
	v_dual_add_f32 v47, v4, v14 :: v_dual_mov_b32 v4, 0
	v_dot2acc_f32_f16 v4, v51, v0
	s_delay_alu instid0(VALU_DEP_1) | instskip(NEXT) | instid1(VALU_DEP_1)
	v_dot2acc_f32_f16 v4, v52, v1
	v_dot2acc_f32_f16 v4, v53, v2
	s_delay_alu instid0(VALU_DEP_1) | instskip(NEXT) | instid1(VALU_DEP_1)
	v_dot2acc_f32_f16 v4, v54, v3
	v_add_f32_e32 v48, v4, v15
	v_mov_b32_e32 v4, 0
	s_delay_alu instid0(VALU_DEP_1) | instskip(NEXT) | instid1(VALU_DEP_1)
	v_dot2acc_f32_f16 v4, v55, v0
	v_dot2acc_f32_f16 v4, v56, v1
	s_delay_alu instid0(VALU_DEP_1) | instskip(NEXT) | instid1(VALU_DEP_1)
	v_dot2acc_f32_f16 v4, v57, v2
	v_dot2acc_f32_f16 v4, v58, v3
	s_delay_alu instid0(VALU_DEP_1)
	v_add_f32_e32 v49, v4, v8
	s_cbranch_scc1 .LBB1_18
.LBB1_16:                               ; =>This Inner Loop Header: Depth=1
	s_cmp_lg_u32 s15, s4
	s_cbranch_scc1 .LBB1_15
; %bb.17:                               ;   in Loop: Header=BB1_16 Depth=1
	s_add_i32 s14, s14, 1
	s_add_i32 s4, s4, s10
	s_mul_i32 s18, s14, s11
	s_mul_i32 s22, s14, s9
	s_ashr_i32 s19, s18, 31
	s_ashr_i32 s23, s22, 31
	s_lshl_b64 s[18:19], s[18:19], 2
	s_delay_alu instid0(SALU_CYCLE_1) | instskip(SKIP_2) | instid1(SALU_CYCLE_1)
	v_add_co_u32 v0, vcc_lo, v23, s18
	v_add_co_ci_u32_e32 v1, vcc_lo, s19, v24, vcc_lo
	s_lshl_b64 s[18:19], s[22:23], 1
	v_add_co_u32 v2, vcc_lo, v20, s18
	v_add_co_ci_u32_e32 v3, vcc_lo, s19, v21, vcc_lo
	global_load_b32 v4, v[0:1], off
	global_load_b64 v[0:1], v[2:3], off
	s_waitcnt vmcnt(1)
	v_lshrrev_b32_e32 v2, v22, v4
	v_bfe_u32 v3, v4, v22, 4
	s_waitcnt vmcnt(0)
	v_alignbit_b32 v4, s0, v0, 16
	v_alignbit_b32 v5, s0, v1, 16
	v_perm_b32 v25, v0, v0, 0x5040100
	v_bfe_u32 v6, v2, 4, 4
	v_add_nc_u32_e32 v3, s20, v3
	v_bfe_u32 v7, v2, 8, 4
	v_bfe_u32 v2, v2, 12, 4
	v_pk_mul_f16 v27, 0x2c00, v0 op_sel_hi:[0,0]
	v_add_nc_u32_e32 v6, s20, v6
	v_cvt_f32_i32_e32 v8, v3
	v_or_b32_e32 v3, 0xffffe400, v3
	v_add_nc_u32_e32 v7, s20, v7
	v_add_nc_u32_e32 v2, s20, v2
	v_or_b32_e32 v9, 0xffffe400, v6
	v_cvt_f32_i32_e32 v6, v6
	v_pk_mul_f16 v3, v0, v3
	v_or_b32_e32 v10, 0xffffe400, v7
	v_cvt_f32_i32_e32 v7, v7
	v_or_b32_e32 v11, 0xffffe400, v2
	v_cvt_f32_i32_e32 v2, v2
	v_cvt_f16_f32_e32 v8, v8
	v_pack_b32_f16 v33, v3, v3
	v_cvt_f16_f32_e32 v3, v6
	v_cvt_f16_f32_e32 v7, v7
	;; [unrolled: 1-line block ×3, first 2 shown]
	v_sub_f16_e32 v8, 0xd400, v8
	v_perm_b32 v26, v0, v0, 0x7060302
	v_sub_f16_e32 v3, 0xd400, v3
	v_sub_f16_e32 v7, 0xd400, v7
	;; [unrolled: 1-line block ×3, first 2 shown]
	v_pk_mul_f16 v28, 0x2c00, v0 op_sel:[0,1] op_sel_hi:[0,1]
	v_pk_mul_f16 v6, v4, v9
	v_pk_mul_f16 v9, v1, v10
	;; [unrolled: 1-line block ×7, first 2 shown]
	v_perm_b32 v29, v1, v1, 0x5040100
	v_pk_mul_f16 v30, 0x2c00, v1 op_sel_hi:[0,0]
	v_perm_b32 v31, v1, v1, 0x7060302
	v_pack_b32_f16 v36, v6, v6
	v_pack_b32_f16 v34, v9, v9
	v_pack_b32_f16 v35, v10, v10
	v_pack_b32_f16 v37, v0, v0
	v_pack_b32_f16 v38, v3, v3
	v_pack_b32_f16 v39, v4, v4
	v_pack_b32_f16 v40, v2, v2
	v_pk_mul_f16 v32, 0x2c00, v1 op_sel:[0,1] op_sel_hi:[0,1]
	s_branch .LBB1_15
.LBB1_18:
	v_cvt_f16_f32_e32 v15, v44
	v_cvt_f16_f32_e32 v14, v43
	;; [unrolled: 1-line block ×8, first 2 shown]
	v_add_co_u32 v10, vcc_lo, s6, v16
	v_add_co_ci_u32_e32 v11, vcc_lo, s7, v17, vcc_lo
	s_cmp_lt_i32 s12, s8
	s_cbranch_scc0 .LBB1_13
.LBB1_19:
	s_mul_i32 s0, s12, s9
	v_perm_b32 v14, v14, v15, 0x5040100
	s_ashr_i32 s1, s0, 31
	v_perm_b32 v12, v12, v13, 0x5040100
	s_lshl_b64 s[0:1], s[0:1], 1
	s_delay_alu instid0(SALU_CYCLE_1)
	v_add_co_u32 v4, vcc_lo, v10, s0
	v_add_co_ci_u32_e32 v5, vcc_lo, s1, v11, vcc_lo
	s_mov_b32 s0, 0
	global_load_b64 v[2:3], v[4:5], off
.LBB1_20:                               ; =>This Inner Loop Header: Depth=1
	s_waitcnt vmcnt(0)
	v_pk_add_f16 v0, v14, v2
	v_pk_add_f16 v1, v12, v3
	global_atomic_cmpswap_b64 v[0:1], v[4:5], v[0:3], off glc
	s_waitcnt vmcnt(0)
	v_cmp_eq_u64_e32 vcc_lo, v[0:1], v[2:3]
	v_dual_mov_b32 v3, v1 :: v_dual_mov_b32 v2, v0
	s_or_b32 s0, vcc_lo, s0
	s_delay_alu instid0(SALU_CYCLE_1)
	s_and_not1_b32 exec_lo, exec_lo, s0
	s_cbranch_execnz .LBB1_20
; %bb.21:
	s_or_b32 exec_lo, exec_lo, s0
	s_or_b32 s0, s12, 1
	s_delay_alu instid0(SALU_CYCLE_1)
	s_cmp_ge_i32 s0, s8
	s_cbranch_scc1 .LBB1_24
.LBB1_22:
	s_mul_i32 s0, s0, s9
	v_perm_b32 v8, v8, v9, 0x5040100
	s_ashr_i32 s1, s0, 31
	v_perm_b32 v6, v6, v7, 0x5040100
	s_lshl_b64 s[0:1], s[0:1], 1
	s_delay_alu instid0(SALU_CYCLE_1)
	v_add_co_u32 v4, vcc_lo, v10, s0
	v_add_co_ci_u32_e32 v5, vcc_lo, s1, v11, vcc_lo
	s_mov_b32 s0, 0
	global_load_b64 v[2:3], v[4:5], off
.LBB1_23:                               ; =>This Inner Loop Header: Depth=1
	s_waitcnt vmcnt(0)
	v_pk_add_f16 v0, v8, v2
	v_pk_add_f16 v1, v6, v3
	global_atomic_cmpswap_b64 v[0:1], v[4:5], v[0:3], off glc
	s_waitcnt vmcnt(0)
	v_cmp_eq_u64_e32 vcc_lo, v[0:1], v[2:3]
	v_dual_mov_b32 v3, v1 :: v_dual_mov_b32 v2, v0
	s_or_b32 s0, vcc_lo, s0
	s_delay_alu instid0(SALU_CYCLE_1)
	s_and_not1_b32 exec_lo, exec_lo, s0
	s_cbranch_execnz .LBB1_23
.LBB1_24:
	s_endpgm
	.section	.rodata,"a",@progbits
	.p2align	6, 0x0
	.amdhsa_kernel _ZN4vllm10gptq_rdna320gemm_q4_kernel_rdna3I6__halfLi2EEEvPKT_PKjS7_S5_PS3_iiiiiPKi
		.amdhsa_group_segment_fixed_size 1056
		.amdhsa_private_segment_fixed_size 0
		.amdhsa_kernarg_size 72
		.amdhsa_user_sgpr_count 13
		.amdhsa_user_sgpr_dispatch_ptr 0
		.amdhsa_user_sgpr_queue_ptr 0
		.amdhsa_user_sgpr_kernarg_segment_ptr 1
		.amdhsa_user_sgpr_dispatch_id 0
		.amdhsa_user_sgpr_private_segment_size 0
		.amdhsa_wavefront_size32 1
		.amdhsa_uses_dynamic_stack 0
		.amdhsa_enable_private_segment 0
		.amdhsa_system_sgpr_workgroup_id_x 1
		.amdhsa_system_sgpr_workgroup_id_y 1
		.amdhsa_system_sgpr_workgroup_id_z 1
		.amdhsa_system_sgpr_workgroup_info 0
		.amdhsa_system_vgpr_workitem_id 0
		.amdhsa_next_free_vgpr 81
		.amdhsa_next_free_sgpr 24
		.amdhsa_reserve_vcc 1
		.amdhsa_float_round_mode_32 0
		.amdhsa_float_round_mode_16_64 0
		.amdhsa_float_denorm_mode_32 3
		.amdhsa_float_denorm_mode_16_64 3
		.amdhsa_dx10_clamp 1
		.amdhsa_ieee_mode 1
		.amdhsa_fp16_overflow 0
		.amdhsa_workgroup_processor_mode 1
		.amdhsa_memory_ordered 1
		.amdhsa_forward_progress 0
		.amdhsa_shared_vgpr_count 0
		.amdhsa_exception_fp_ieee_invalid_op 0
		.amdhsa_exception_fp_denorm_src 0
		.amdhsa_exception_fp_ieee_div_zero 0
		.amdhsa_exception_fp_ieee_overflow 0
		.amdhsa_exception_fp_ieee_underflow 0
		.amdhsa_exception_fp_ieee_inexact 0
		.amdhsa_exception_int_div_zero 0
	.end_amdhsa_kernel
	.section	.text._ZN4vllm10gptq_rdna320gemm_q4_kernel_rdna3I6__halfLi2EEEvPKT_PKjS7_S5_PS3_iiiiiPKi,"axG",@progbits,_ZN4vllm10gptq_rdna320gemm_q4_kernel_rdna3I6__halfLi2EEEvPKT_PKjS7_S5_PS3_iiiiiPKi,comdat
.Lfunc_end1:
	.size	_ZN4vllm10gptq_rdna320gemm_q4_kernel_rdna3I6__halfLi2EEEvPKT_PKjS7_S5_PS3_iiiiiPKi, .Lfunc_end1-_ZN4vllm10gptq_rdna320gemm_q4_kernel_rdna3I6__halfLi2EEEvPKT_PKjS7_S5_PS3_iiiiiPKi
                                        ; -- End function
	.section	.AMDGPU.csdata,"",@progbits
; Kernel info:
; codeLenInByte = 5004
; NumSgprs: 26
; NumVgprs: 81
; ScratchSize: 0
; MemoryBound: 0
; FloatMode: 240
; IeeeMode: 1
; LDSByteSize: 1056 bytes/workgroup (compile time only)
; SGPRBlocks: 3
; VGPRBlocks: 10
; NumSGPRsForWavesPerEU: 26
; NumVGPRsForWavesPerEU: 81
; Occupancy: 16
; WaveLimiterHint : 0
; COMPUTE_PGM_RSRC2:SCRATCH_EN: 0
; COMPUTE_PGM_RSRC2:USER_SGPR: 13
; COMPUTE_PGM_RSRC2:TRAP_HANDLER: 0
; COMPUTE_PGM_RSRC2:TGID_X_EN: 1
; COMPUTE_PGM_RSRC2:TGID_Y_EN: 1
; COMPUTE_PGM_RSRC2:TGID_Z_EN: 1
; COMPUTE_PGM_RSRC2:TIDIG_COMP_CNT: 0
	.section	.text._ZN4vllm10gptq_rdna320gemm_q4_kernel_rdna3I6__halfLi4EEEvPKT_PKjS7_S5_PS3_iiiiiPKi,"axG",@progbits,_ZN4vllm10gptq_rdna320gemm_q4_kernel_rdna3I6__halfLi4EEEvPKT_PKjS7_S5_PS3_iiiiiPKi,comdat
	.protected	_ZN4vllm10gptq_rdna320gemm_q4_kernel_rdna3I6__halfLi4EEEvPKT_PKjS7_S5_PS3_iiiiiPKi ; -- Begin function _ZN4vllm10gptq_rdna320gemm_q4_kernel_rdna3I6__halfLi4EEEvPKT_PKjS7_S5_PS3_iiiiiPKi
	.globl	_ZN4vllm10gptq_rdna320gemm_q4_kernel_rdna3I6__halfLi4EEEvPKT_PKjS7_S5_PS3_iiiiiPKi
	.p2align	8
	.type	_ZN4vllm10gptq_rdna320gemm_q4_kernel_rdna3I6__halfLi4EEEvPKT_PKjS7_S5_PS3_iiiiiPKi,@function
_ZN4vllm10gptq_rdna320gemm_q4_kernel_rdna3I6__halfLi4EEEvPKT_PKjS7_S5_PS3_iiiiiPKi: ; @_ZN4vllm10gptq_rdna320gemm_q4_kernel_rdna3I6__halfLi4EEEvPKT_PKjS7_S5_PS3_iiiiiPKi
; %bb.0:
	s_clause 0x2
	s_load_b256 s[4:11], s[0:1], 0x18
	s_load_b128 s[16:19], s[0:1], 0x8
	s_load_b32 s20, s[0:1], 0x38
	s_lshl_b32 s15, s15, 8
	s_lshl_b32 s12, s14, 2
	v_add_nc_u32_e32 v1, s15, v0
	s_add_i32 s2, s15, 0x100
	s_waitcnt lgkmcnt(0)
	s_min_i32 s21, s2, s10
	s_mov_b32 s2, exec_lo
	v_cmpx_gt_i32_e64 s21, v1
	s_cbranch_execz .LBB2_18
; %bb.1:
	s_clause 0x1
	s_load_b64 s[22:23], s[0:1], 0x40
	s_load_b64 s[0:1], s[0:1], 0x0
	v_ashrrev_i32_e32 v2, 31, v1
	v_mov_b32_e32 v5, 0
	s_delay_alu instid0(VALU_DEP_2) | instskip(SKIP_2) | instid1(VALU_DEP_1)
	v_lshlrev_b64 v[3:4], 2, v[1:2]
	s_waitcnt lgkmcnt(0)
	s_cmp_lg_u64 s[22:23], 0
	v_add_co_u32 v3, vcc_lo, s22, v3
	s_cselect_b32 s3, -1, 0
	s_delay_alu instid0(VALU_DEP_2) | instskip(SKIP_2) | instid1(VALU_DEP_1)
	v_add_co_ci_u32_e32 v4, vcc_lo, s23, v4, vcc_lo
	v_cndmask_b32_e64 v7, 0, 1, s3
	s_cmp_ge_i32 s12, s8
	v_cmp_ne_u32_e32 vcc_lo, 1, v7
	s_cbranch_scc1 .LBB2_5
; %bb.2:
	v_dual_mov_b32 v6, v2 :: v_dual_mov_b32 v5, v1
	s_and_b32 vcc_lo, exec_lo, vcc_lo
	s_cbranch_vccnz .LBB2_4
; %bb.3:
	global_load_b32 v5, v[3:4], off
	s_waitcnt vmcnt(0)
	v_ashrrev_i32_e32 v6, 31, v5
.LBB2_4:
	s_mul_i32 s22, s12, s10
	s_delay_alu instid0(VALU_DEP_1) | instskip(SKIP_1) | instid1(SALU_CYCLE_1)
	v_lshlrev_b64 v[5:6], 1, v[5:6]
	s_ashr_i32 s23, s22, 31
	s_lshl_b64 s[22:23], s[22:23], 1
	s_delay_alu instid0(SALU_CYCLE_1) | instskip(SKIP_1) | instid1(VALU_DEP_1)
	s_add_u32 s14, s0, s22
	s_addc_u32 s22, s1, s23
	v_add_co_u32 v5, vcc_lo, s14, v5
	v_add_co_ci_u32_e32 v6, vcc_lo, s22, v6, vcc_lo
	global_load_u16 v5, v[5:6], off
.LBB2_5:
	v_lshlrev_b32_e32 v8, 1, v0
	v_mov_b32_e32 v6, 0
	s_or_b32 s14, s12, 1
	s_delay_alu instid0(SALU_CYCLE_1)
	s_cmp_ge_i32 s14, s8
	s_waitcnt vmcnt(0)
	ds_store_b16 v8, v5
	s_cbranch_scc1 .LBB2_9
; %bb.6:
	v_dual_mov_b32 v6, v2 :: v_dual_mov_b32 v5, v1
	s_and_not1_b32 vcc_lo, exec_lo, s3
	s_cbranch_vccnz .LBB2_8
; %bb.7:
	global_load_b32 v5, v[3:4], off
	s_waitcnt vmcnt(0)
	v_ashrrev_i32_e32 v6, 31, v5
.LBB2_8:
	s_mul_i32 s22, s14, s10
	s_delay_alu instid0(VALU_DEP_1) | instskip(SKIP_1) | instid1(SALU_CYCLE_1)
	v_lshlrev_b64 v[5:6], 1, v[5:6]
	s_ashr_i32 s23, s22, 31
	s_lshl_b64 s[22:23], s[22:23], 1
	s_delay_alu instid0(SALU_CYCLE_1) | instskip(SKIP_1) | instid1(VALU_DEP_1)
	s_add_u32 s3, s0, s22
	s_addc_u32 s14, s1, s23
	v_add_co_u32 v5, vcc_lo, s3, v5
	v_add_co_ci_u32_e32 v6, vcc_lo, s14, v6, vcc_lo
	global_load_u16 v6, v[5:6], off
.LBB2_9:
	v_mov_b32_e32 v5, 0
	s_or_b32 s3, s12, 2
	s_waitcnt vmcnt(0)
	ds_store_b16 v8, v6 offset:528
	s_cmp_ge_i32 s3, s8
	s_cbranch_scc1 .LBB2_13
; %bb.10:
	v_cmp_ne_u32_e32 vcc_lo, 1, v7
	v_dual_mov_b32 v6, v2 :: v_dual_mov_b32 v5, v1
	s_cbranch_vccnz .LBB2_12
; %bb.11:
	global_load_b32 v5, v[3:4], off
	s_waitcnt vmcnt(0)
	v_ashrrev_i32_e32 v6, 31, v5
.LBB2_12:
	s_mul_i32 s22, s3, s10
	s_delay_alu instid0(VALU_DEP_1) | instskip(SKIP_1) | instid1(SALU_CYCLE_1)
	v_lshlrev_b64 v[5:6], 1, v[5:6]
	s_ashr_i32 s23, s22, 31
	s_lshl_b64 s[22:23], s[22:23], 1
	s_delay_alu instid0(SALU_CYCLE_1) | instskip(SKIP_1) | instid1(VALU_DEP_1)
	s_add_u32 s3, s0, s22
	s_addc_u32 s14, s1, s23
	v_add_co_u32 v5, vcc_lo, s3, v5
	v_add_co_ci_u32_e32 v6, vcc_lo, s14, v6, vcc_lo
	global_load_u16 v5, v[5:6], off
.LBB2_13:
	v_mov_b32_e32 v6, 0
	s_or_b32 s3, s12, 3
	s_waitcnt vmcnt(0)
	ds_store_b16 v8, v5 offset:1056
	s_cmp_ge_i32 s3, s8
	s_cbranch_scc1 .LBB2_17
; %bb.14:
	v_cmp_ne_u32_e32 vcc_lo, 1, v7
	s_cbranch_vccnz .LBB2_16
; %bb.15:
	global_load_b32 v1, v[3:4], off
	s_waitcnt vmcnt(0)
	v_ashrrev_i32_e32 v2, 31, v1
.LBB2_16:
	s_mul_i32 s22, s3, s10
	s_delay_alu instid0(VALU_DEP_1) | instskip(SKIP_1) | instid1(SALU_CYCLE_1)
	v_lshlrev_b64 v[1:2], 1, v[1:2]
	s_ashr_i32 s23, s22, 31
	s_lshl_b64 s[22:23], s[22:23], 1
	s_delay_alu instid0(SALU_CYCLE_1) | instskip(SKIP_1) | instid1(VALU_DEP_1)
	s_add_u32 s0, s0, s22
	s_addc_u32 s1, s1, s23
	v_add_co_u32 v1, vcc_lo, s0, v1
	v_add_co_ci_u32_e32 v2, vcc_lo, s1, v2, vcc_lo
	global_load_u16 v6, v[1:2], off
.LBB2_17:
	s_waitcnt vmcnt(0)
	ds_store_b16 v8, v6 offset:1584
.LBB2_18:
	s_or_b32 exec_lo, exec_lo, s2
	v_lshlrev_b32_e32 v1, 2, v0
	s_waitcnt lgkmcnt(0)
	s_barrier
	buffer_gl0_inv
	s_mov_b32 s0, exec_lo
	v_lshl_add_u32 v1, s13, 10, v1
	s_delay_alu instid0(VALU_DEP_1)
	v_cmpx_gt_i32_e64 s9, v1
	s_cbranch_execz .LBB2_40
; %bb.19:
	s_abs_i32 s0, s11
	v_dual_mov_b32 v6, 0 :: v_dual_mov_b32 v7, 0
	v_cvt_f32_u32_e32 v2, s0
	v_dual_mov_b32 v8, 0 :: v_dual_mov_b32 v9, 0
	v_dual_mov_b32 v10, 0 :: v_dual_mov_b32 v11, 0
	s_delay_alu instid0(VALU_DEP_3) | instskip(SKIP_3) | instid1(VALU_DEP_3)
	v_rcp_iflag_f32_e32 v3, v2
	v_ashrrev_i32_e32 v2, 31, v1
	v_dual_mov_b32 v12, 0 :: v_dual_mov_b32 v13, 0
	v_dual_mov_b32 v19, 0 :: v_dual_mov_b32 v20, 0
	v_lshlrev_b64 v[16:17], 1, v[1:2]
	v_dual_mov_b32 v21, 0 :: v_dual_mov_b32 v22, 0
	s_waitcnt_depctr 0xfff
	v_dual_mov_b32 v18, 0 :: v_dual_mul_f32 v3, 0x4f7ffffe, v3
	v_dual_mov_b32 v23, 0 :: v_dual_mov_b32 v24, 0
	v_mov_b32_e32 v25, 0
	s_cmp_ge_i32 s15, s10
	s_delay_alu instid0(VALU_DEP_3) | instskip(SKIP_1) | instid1(VALU_DEP_1)
	v_cvt_u32_f32_e32 v3, v3
	s_mov_b32 s13, 0
	v_readfirstlane_b32 s1, v3
	s_cbranch_scc0 .LBB2_24
; %bb.20:
	v_add_co_u32 v14, vcc_lo, s6, v16
	v_add_co_ci_u32_e32 v15, vcc_lo, s7, v17, vcc_lo
	s_cmp_lt_i32 s12, s8
	s_cbranch_scc1 .LBB2_29
.LBB2_21:
	s_or_b32 s0, s12, 1
	s_delay_alu instid0(SALU_CYCLE_1)
	s_cmp_ge_i32 s0, s8
	s_cbranch_scc0 .LBB2_32
.LBB2_22:
	s_or_b32 s0, s12, 2
	s_delay_alu instid0(SALU_CYCLE_1)
	s_cmp_ge_i32 s0, s8
	s_cbranch_scc0 .LBB2_35
.LBB2_23:
	s_or_b32 s0, s12, 3
	s_delay_alu instid0(SALU_CYCLE_1)
	s_cmp_ge_i32 s0, s8
	s_cbranch_scc0 .LBB2_38
	s_branch .LBB2_40
.LBB2_24:
	s_sub_i32 s2, 0, s0
	s_abs_i32 s3, s10
	s_delay_alu instid0(VALU_DEP_1)
	s_mul_i32 s2, s2, s1
	v_lshrrev_b32_e32 v4, 29, v2
	s_mul_hi_u32 s2, s1, s2
	v_dual_mov_b32 v45, 0 :: v_dual_mov_b32 v42, 0
	s_add_i32 s1, s1, s2
	s_ashr_i32 s2, s10, 31
	s_mul_hi_u32 s1, s3, s1
	s_ashr_i32 s10, s11, 31
	s_mul_i32 s11, s1, s0
	s_xor_b32 s2, s2, s10
	s_sub_i32 s3, s3, s11
	s_add_i32 s10, s1, 1
	s_sub_i32 s11, s3, s0
	s_cmp_ge_u32 s3, s0
	v_dual_mov_b32 v43, 0 :: v_dual_mov_b32 v48, 0
	s_cselect_b32 s1, s10, s1
	s_cselect_b32 s3, s11, s3
	s_add_i32 s10, s1, 1
	s_cmp_ge_u32 s3, s0
	v_dual_mov_b32 v49, 0 :: v_dual_mov_b32 v46, 0
	s_cselect_b32 s0, s10, s1
	s_abs_i32 s14, s15
	s_xor_b32 s0, s0, s2
	s_ashr_i32 s1, s9, 31
	s_sub_i32 s10, s0, s2
	s_lshr_b32 s11, s1, 29
	s_abs_i32 s0, s10
	s_add_i32 s11, s9, s11
	v_cvt_f32_u32_e32 v3, s0
	s_sub_i32 s3, 0, s0
	s_ashr_i32 s11, s11, 3
	v_dual_mov_b32 v47, 0 :: v_dual_mov_b32 v52, 0
	s_delay_alu instid0(VALU_DEP_2)
	v_rcp_iflag_f32_e32 v3, v3
	v_dual_mov_b32 v53, 0 :: v_dual_mov_b32 v50, 0
	v_dual_mov_b32 v51, 0 :: v_dual_mov_b32 v54, 0
	;; [unrolled: 1-line block ×4, first 2 shown]
	s_waitcnt_depctr 0xfff
	v_mul_f32_e32 v3, 0x4f7ffffe, v3
	s_delay_alu instid0(VALU_DEP_1) | instskip(NEXT) | instid1(VALU_DEP_1)
	v_cvt_u32_f32_e32 v3, v3
	v_readfirstlane_b32 s2, v3
	v_add_nc_u32_e32 v3, v1, v4
	s_delay_alu instid0(VALU_DEP_2) | instskip(NEXT) | instid1(VALU_DEP_1)
	s_mul_i32 s3, s3, s2
	v_ashrrev_i32_e32 v3, 3, v3
	s_mul_hi_u32 s3, s2, s3
	s_delay_alu instid0(SALU_CYCLE_1)
	s_add_i32 s2, s2, s3
	s_xor_b32 s3, s15, s10
	s_mul_hi_u32 s2, s14, s2
	s_ashr_i32 s3, s3, 31
	s_mul_i32 s22, s2, s0
	v_ashrrev_i32_e32 v4, 31, v3
	s_sub_i32 s14, s14, s22
	s_add_i32 s22, s2, 1
	s_sub_i32 s23, s14, s0
	s_cmp_ge_u32 s14, s0
	v_lshlrev_b64 v[3:4], 2, v[3:4]
	s_cselect_b32 s2, s22, s2
	s_cselect_b32 s14, s23, s14
	s_add_i32 s22, s2, 1
	s_cmp_ge_u32 s14, s0
	s_cselect_b32 s0, s22, s2
	s_delay_alu instid0(SALU_CYCLE_1) | instskip(NEXT) | instid1(SALU_CYCLE_1)
	s_xor_b32 s0, s0, s3
	s_sub_i32 s14, s0, s3
	s_delay_alu instid0(SALU_CYCLE_1) | instskip(SKIP_2) | instid1(SALU_CYCLE_1)
	s_mul_i32 s2, s14, s9
	s_mul_i32 s22, s14, s11
	s_ashr_i32 s3, s2, 31
	s_lshl_b64 s[2:3], s[2:3], 1
	s_delay_alu instid0(SALU_CYCLE_1)
	s_add_u32 s0, s4, s2
	s_addc_u32 s2, s5, s3
	s_ashr_i32 s23, s22, 31
	v_add_co_u32 v5, vcc_lo, s0, v16
	v_add_co_ci_u32_e32 v6, vcc_lo, s2, v17, vcc_lo
	s_lshl_b64 s[2:3], s[22:23], 2
	s_delay_alu instid0(SALU_CYCLE_1)
	s_add_u32 s0, s18, s2
	s_addc_u32 s2, s19, s3
	v_add_co_u32 v7, vcc_lo, s0, v3
	v_add_co_ci_u32_e32 v8, vcc_lo, s2, v4, vcc_lo
	global_load_b64 v[5:6], v[5:6], off
	v_add_co_u32 v20, vcc_lo, s4, v16
	global_load_b32 v7, v[7:8], off
	v_lshlrev_b32_e32 v8, 4, v0
	v_lshlrev_b64 v[0:1], 2, v[1:2]
	v_add_co_ci_u32_e32 v21, vcc_lo, s5, v17, vcc_lo
	v_add_co_u32 v23, vcc_lo, s18, v3
	s_delay_alu instid0(VALU_DEP_4) | instskip(SKIP_4) | instid1(SALU_CYCLE_1)
	v_and_b32_e32 v22, 16, v8
	v_add_co_ci_u32_e32 v24, vcc_lo, s19, v4, vcc_lo
	s_ashr_i32 s2, s15, 3
	s_mov_b32 s0, s9
	s_mul_i32 s2, s2, s9
	s_ashr_i32 s3, s2, 31
	s_delay_alu instid0(SALU_CYCLE_1) | instskip(NEXT) | instid1(SALU_CYCLE_1)
	s_lshl_b64 s[2:3], s[2:3], 2
	s_add_u32 s4, s16, s2
	s_addc_u32 s3, s17, s3
	s_lshl_b64 s[0:1], s[0:1], 2
	v_add_co_u32 v18, vcc_lo, s4, v0
	v_add_co_ci_u32_e32 v19, vcc_lo, s3, v1, vcc_lo
	s_lshl_b32 s2, s9, 2
	s_add_i32 s5, s14, 1
	s_ashr_i32 s3, s2, 31
	s_mul_i32 s4, s5, s10
	s_lshl_b64 s[2:3], s[2:3], 2
	s_mov_b32 s5, 0xf000f
	s_mov_b32 s16, 0xf000f0
	s_waitcnt vmcnt(1)
	v_alignbit_b32 v0, s0, v6, 16
	v_alignbit_b32 v1, s0, v5, 16
	v_perm_b32 v31, v6, v6, 0x7060302
	s_waitcnt vmcnt(0)
	v_lshrrev_b32_e32 v2, v8, v7
	v_bfe_u32 v3, v7, v22, 4
	v_pk_mul_f16 v32, 0x2c00, v6 op_sel:[0,1] op_sel_hi:[0,1]
	v_perm_b32 v29, v6, v6, 0x5040100
	v_pk_mul_f16 v30, 0x2c00, v6 op_sel_hi:[0,0]
	v_bfe_u32 v4, v2, 12, 4
	v_bfe_u32 v7, v2, 8, 4
	;; [unrolled: 1-line block ×3, first 2 shown]
	v_add_nc_u32_e32 v3, s20, v3
	v_perm_b32 v26, v5, v5, 0x7060302
	v_add_nc_u32_e32 v4, s20, v4
	v_add_nc_u32_e32 v7, s20, v7
	;; [unrolled: 1-line block ×3, first 2 shown]
	v_or_b32_e32 v8, 0xffffe400, v3
	v_cvt_f32_i32_e32 v3, v3
	v_or_b32_e32 v9, 0xffffe400, v4
	v_or_b32_e32 v10, 0xffffe400, v7
	;; [unrolled: 1-line block ×3, first 2 shown]
	v_cvt_f32_i32_e32 v4, v4
	v_cvt_f32_i32_e32 v7, v7
	;; [unrolled: 1-line block ×3, first 2 shown]
	v_cvt_f16_f32_e32 v3, v3
	v_pk_mul_f16 v8, v5, v8
	v_cvt_f16_f32_e32 v4, v4
	v_cvt_f16_f32_e32 v7, v7
	;; [unrolled: 1-line block ×3, first 2 shown]
	v_sub_f16_e32 v3, 0xd400, v3
	v_pk_mul_f16 v9, v0, v9
	v_sub_f16_e32 v4, 0xd400, v4
	v_sub_f16_e32 v7, 0xd400, v7
	v_sub_f16_e32 v2, 0xd400, v2
	v_pk_mul_f16 v10, v6, v10
	v_pk_mul_f16 v11, v1, v11
	;; [unrolled: 1-line block ×6, first 2 shown]
	v_pk_mul_f16 v28, 0x2c00, v5 op_sel:[0,1] op_sel_hi:[0,1]
	v_perm_b32 v25, v5, v5, 0x5040100
	v_pk_mul_f16 v27, 0x2c00, v5 op_sel_hi:[0,0]
	v_pack_b32_f16 v33, v8, v8
	v_pack_b32_f16 v35, v9, v9
	;; [unrolled: 1-line block ×8, first 2 shown]
	s_branch .LBB2_26
.LBB2_25:                               ;   in Loop: Header=BB2_26 Depth=1
	global_load_b128 v[4:7], v[18:19], off
	v_add_co_u32 v0, vcc_lo, v18, s0
	v_add_co_ci_u32_e32 v1, vcc_lo, s1, v19, vcc_lo
	v_dual_mov_b32 v41, s13 :: v_dual_mov_b32 v86, 0
	s_add_i32 s15, s15, 32
	global_load_b128 v[58:61], v[0:1], off
	v_add_co_u32 v0, vcc_lo, v0, s0
	v_add_co_ci_u32_e32 v1, vcc_lo, s1, v1, vcc_lo
	s_add_i32 s13, s13, 64
	s_cmp_ge_i32 s15, s21
	global_load_b128 v[12:15], v[0:1], off
	v_add_co_u32 v0, vcc_lo, v0, s0
	v_add_co_ci_u32_e32 v1, vcc_lo, s1, v1, vcc_lo
	v_add_co_u32 v18, vcc_lo, v18, s2
	v_add_co_ci_u32_e32 v19, vcc_lo, s3, v19, vcc_lo
	global_load_b128 v[0:3], v[0:1], off
	s_waitcnt vmcnt(3)
	v_and_or_b32 v8, v4, s5, 0x64006400
	v_and_or_b32 v9, v4, s16, 0x64006400
	v_lshrrev_b32_e32 v4, 8, v4
	s_delay_alu instid0(VALU_DEP_3) | instskip(SKIP_1) | instid1(VALU_DEP_3)
	v_pk_fma_f16 v70, v8, v25, v33
	v_and_or_b32 v8, v5, s16, 0x64006400
	v_and_or_b32 v10, v4, s5, 0x64006400
	;; [unrolled: 1-line block ×3, first 2 shown]
	v_pk_fma_f16 v71, v9, v27, v37
	s_delay_alu instid0(VALU_DEP_4) | instskip(NEXT) | instid1(VALU_DEP_4)
	v_pk_fma_f16 v75, v8, v28, v38
	v_pk_fma_f16 v72, v10, v25, v33
	s_delay_alu instid0(VALU_DEP_4) | instskip(SKIP_2) | instid1(VALU_DEP_2)
	v_pk_fma_f16 v73, v4, v27, v37
	v_and_or_b32 v4, v5, s5, 0x64006400
	v_lshrrev_b32_e32 v5, 8, v5
	v_pk_fma_f16 v74, v4, v26, v36
	s_delay_alu instid0(VALU_DEP_2) | instskip(SKIP_2) | instid1(VALU_DEP_3)
	v_and_or_b32 v9, v5, s5, 0x64006400
	v_and_or_b32 v5, v5, s16, 0x64006400
	v_and_or_b32 v4, v6, s5, 0x64006400
	v_pk_fma_f16 v76, v9, v26, v36
	s_delay_alu instid0(VALU_DEP_3) | instskip(SKIP_4) | instid1(VALU_DEP_4)
	v_pk_fma_f16 v77, v5, v28, v38
	v_and_or_b32 v5, v6, s16, 0x64006400
	v_lshrrev_b32_e32 v6, 8, v6
	v_pk_fma_f16 v78, v4, v29, v34
	v_and_or_b32 v4, v7, s5, 0x64006400
	v_pk_fma_f16 v79, v5, v30, v39
	s_delay_alu instid0(VALU_DEP_4) | instskip(SKIP_3) | instid1(VALU_DEP_4)
	v_and_or_b32 v8, v6, s5, 0x64006400
	v_and_or_b32 v6, v6, s16, 0x64006400
	;; [unrolled: 1-line block ×3, first 2 shown]
	v_pk_fma_f16 v82, v4, v31, v35
	v_pk_fma_f16 v80, v8, v29, v34
	s_delay_alu instid0(VALU_DEP_4) | instskip(SKIP_2) | instid1(VALU_DEP_2)
	v_pk_fma_f16 v81, v6, v30, v39
	v_lshrrev_b32_e32 v6, 8, v7
	v_pk_fma_f16 v83, v5, v32, v40
	v_and_or_b32 v7, v6, s5, 0x64006400
	v_and_or_b32 v6, v6, s16, 0x64006400
	s_delay_alu instid0(VALU_DEP_2) | instskip(NEXT) | instid1(VALU_DEP_2)
	v_pk_fma_f16 v84, v7, v31, v35
	v_pk_fma_f16 v85, v6, v32, v40
	ds_load_b128 v[62:65], v41
	ds_load_b128 v[66:69], v41 offset:16
	ds_load_b128 v[8:11], v41 offset:32
	;; [unrolled: 1-line block ×3, first 2 shown]
	s_waitcnt lgkmcnt(3)
	v_dot2acc_f32_f16 v86, v70, v62
	s_delay_alu instid0(VALU_DEP_1) | instskip(NEXT) | instid1(VALU_DEP_1)
	v_dot2acc_f32_f16 v86, v71, v63
	v_dot2acc_f32_f16 v86, v72, v64
	s_delay_alu instid0(VALU_DEP_1) | instskip(NEXT) | instid1(VALU_DEP_1)
	v_dot2acc_f32_f16 v86, v73, v65
	v_dual_add_f32 v86, v45, v86 :: v_dual_mov_b32 v45, 0
	s_delay_alu instid0(VALU_DEP_1) | instskip(NEXT) | instid1(VALU_DEP_1)
	v_dot2acc_f32_f16 v45, v74, v62
	v_dot2acc_f32_f16 v45, v75, v63
	s_delay_alu instid0(VALU_DEP_1) | instskip(NEXT) | instid1(VALU_DEP_1)
	v_dot2acc_f32_f16 v45, v76, v64
	v_dot2acc_f32_f16 v45, v77, v65
	s_delay_alu instid0(VALU_DEP_1) | instskip(NEXT) | instid1(VALU_DEP_1)
	v_dual_add_f32 v87, v45, v44 :: v_dual_mov_b32 v44, 0
	v_dot2acc_f32_f16 v44, v78, v62
	s_delay_alu instid0(VALU_DEP_1) | instskip(NEXT) | instid1(VALU_DEP_1)
	v_dot2acc_f32_f16 v44, v79, v63
	v_dot2acc_f32_f16 v44, v80, v64
	s_delay_alu instid0(VALU_DEP_1) | instskip(NEXT) | instid1(VALU_DEP_1)
	v_dot2acc_f32_f16 v44, v81, v65
	v_dual_add_f32 v88, v44, v43 :: v_dual_mov_b32 v43, 0
	s_delay_alu instid0(VALU_DEP_1) | instskip(NEXT) | instid1(VALU_DEP_1)
	v_dot2acc_f32_f16 v43, v82, v62
	v_dot2acc_f32_f16 v43, v83, v63
	v_mov_b32_e32 v63, 0
	s_delay_alu instid0(VALU_DEP_2) | instskip(NEXT) | instid1(VALU_DEP_1)
	v_dot2acc_f32_f16 v43, v84, v64
	v_dot2acc_f32_f16 v43, v85, v65
	s_delay_alu instid0(VALU_DEP_1) | instskip(SKIP_3) | instid1(VALU_DEP_1)
	v_add_f32_e32 v62, v43, v42
	ds_load_b128 v[42:45], v41 offset:528
	s_waitcnt lgkmcnt(0)
	v_dot2acc_f32_f16 v63, v70, v42
	v_dot2acc_f32_f16 v63, v71, v43
	s_delay_alu instid0(VALU_DEP_1) | instskip(NEXT) | instid1(VALU_DEP_1)
	v_dot2acc_f32_f16 v63, v72, v44
	v_dot2acc_f32_f16 v63, v73, v45
	s_delay_alu instid0(VALU_DEP_1) | instskip(SKIP_1) | instid1(VALU_DEP_1)
	v_add_f32_e32 v49, v49, v63
	v_mov_b32_e32 v63, 0
	v_dot2acc_f32_f16 v63, v74, v42
	s_delay_alu instid0(VALU_DEP_1) | instskip(NEXT) | instid1(VALU_DEP_1)
	v_dot2acc_f32_f16 v63, v75, v43
	v_dot2acc_f32_f16 v63, v76, v44
	s_delay_alu instid0(VALU_DEP_1) | instskip(NEXT) | instid1(VALU_DEP_1)
	v_dot2acc_f32_f16 v63, v77, v45
	v_dual_add_f32 v48, v63, v48 :: v_dual_mov_b32 v63, 0
	s_delay_alu instid0(VALU_DEP_1) | instskip(NEXT) | instid1(VALU_DEP_1)
	v_dot2acc_f32_f16 v63, v78, v42
	v_dot2acc_f32_f16 v63, v79, v43
	s_delay_alu instid0(VALU_DEP_1) | instskip(NEXT) | instid1(VALU_DEP_1)
	v_dot2acc_f32_f16 v63, v80, v44
	v_dot2acc_f32_f16 v63, v81, v45
	s_delay_alu instid0(VALU_DEP_1) | instskip(SKIP_1) | instid1(VALU_DEP_1)
	v_add_f32_e32 v47, v63, v47
	v_mov_b32_e32 v63, 0
	v_dot2acc_f32_f16 v63, v82, v42
	s_delay_alu instid0(VALU_DEP_1) | instskip(NEXT) | instid1(VALU_DEP_1)
	v_dot2acc_f32_f16 v63, v83, v43
	v_dot2acc_f32_f16 v63, v84, v44
	s_delay_alu instid0(VALU_DEP_1) | instskip(SKIP_3) | instid1(VALU_DEP_1)
	v_dot2acc_f32_f16 v63, v85, v45
	ds_load_b128 v[42:45], v41 offset:1056
	v_dual_add_f32 v63, v63, v46 :: v_dual_mov_b32 v46, 0
	s_waitcnt lgkmcnt(0)
	v_dot2acc_f32_f16 v46, v70, v42
	s_delay_alu instid0(VALU_DEP_1) | instskip(NEXT) | instid1(VALU_DEP_1)
	v_dot2acc_f32_f16 v46, v71, v43
	v_dot2acc_f32_f16 v46, v72, v44
	s_delay_alu instid0(VALU_DEP_1) | instskip(NEXT) | instid1(VALU_DEP_1)
	v_dot2acc_f32_f16 v46, v73, v45
	v_add_f32_e32 v64, v53, v46
	v_mov_b32_e32 v46, 0
	s_delay_alu instid0(VALU_DEP_1) | instskip(NEXT) | instid1(VALU_DEP_1)
	v_dot2acc_f32_f16 v46, v74, v42
	v_dot2acc_f32_f16 v46, v75, v43
	s_delay_alu instid0(VALU_DEP_1) | instskip(NEXT) | instid1(VALU_DEP_1)
	v_dot2acc_f32_f16 v46, v76, v44
	v_dot2acc_f32_f16 v46, v77, v45
	s_delay_alu instid0(VALU_DEP_1) | instskip(NEXT) | instid1(VALU_DEP_1)
	v_dual_add_f32 v65, v46, v52 :: v_dual_mov_b32 v46, 0
	v_dot2acc_f32_f16 v46, v78, v42
	s_delay_alu instid0(VALU_DEP_1) | instskip(NEXT) | instid1(VALU_DEP_1)
	v_dot2acc_f32_f16 v46, v79, v43
	v_dot2acc_f32_f16 v46, v80, v44
	s_delay_alu instid0(VALU_DEP_1) | instskip(NEXT) | instid1(VALU_DEP_1)
	v_dot2acc_f32_f16 v46, v81, v45
	v_dual_add_f32 v89, v46, v51 :: v_dual_mov_b32 v46, 0
	s_delay_alu instid0(VALU_DEP_1) | instskip(NEXT) | instid1(VALU_DEP_1)
	v_dot2acc_f32_f16 v46, v82, v42
	v_dot2acc_f32_f16 v46, v83, v43
	s_delay_alu instid0(VALU_DEP_1) | instskip(NEXT) | instid1(VALU_DEP_1)
	v_dot2acc_f32_f16 v46, v84, v44
	v_dot2acc_f32_f16 v46, v85, v45
	ds_load_b128 v[42:45], v41 offset:1584
	v_add_f32_e32 v90, v46, v50
	v_mov_b32_e32 v46, 0
	ds_load_b128 v[50:53], v41 offset:544
	s_waitcnt lgkmcnt(1)
	v_dot2acc_f32_f16 v46, v70, v42
	s_delay_alu instid0(VALU_DEP_1) | instskip(NEXT) | instid1(VALU_DEP_1)
	v_dot2acc_f32_f16 v46, v71, v43
	v_dot2acc_f32_f16 v46, v72, v44
	s_delay_alu instid0(VALU_DEP_1) | instskip(NEXT) | instid1(VALU_DEP_1)
	v_dot2acc_f32_f16 v46, v73, v45
	v_add_f32_e32 v54, v54, v46
	v_mov_b32_e32 v46, 0
	s_delay_alu instid0(VALU_DEP_1) | instskip(NEXT) | instid1(VALU_DEP_1)
	v_dot2acc_f32_f16 v46, v74, v42
	v_dot2acc_f32_f16 v46, v75, v43
	s_delay_alu instid0(VALU_DEP_1) | instskip(NEXT) | instid1(VALU_DEP_1)
	v_dot2acc_f32_f16 v46, v76, v44
	v_dot2acc_f32_f16 v46, v77, v45
	s_delay_alu instid0(VALU_DEP_1) | instskip(SKIP_1) | instid1(VALU_DEP_1)
	v_add_f32_e32 v70, v46, v55
	v_mov_b32_e32 v46, 0
	v_dot2acc_f32_f16 v46, v78, v42
	s_delay_alu instid0(VALU_DEP_1) | instskip(NEXT) | instid1(VALU_DEP_1)
	v_dot2acc_f32_f16 v46, v79, v43
	v_dot2acc_f32_f16 v46, v80, v44
	s_delay_alu instid0(VALU_DEP_1) | instskip(NEXT) | instid1(VALU_DEP_1)
	v_dot2acc_f32_f16 v46, v81, v45
	v_dual_add_f32 v71, v46, v56 :: v_dual_mov_b32 v46, 0
	s_delay_alu instid0(VALU_DEP_1) | instskip(SKIP_2) | instid1(VALU_DEP_2)
	v_dot2acc_f32_f16 v46, v82, v42
	s_waitcnt vmcnt(2)
	v_and_or_b32 v42, v58, s5, 0x64006400
	v_dot2acc_f32_f16 v46, v83, v43
	v_and_or_b32 v43, v58, s16, 0x64006400
	s_delay_alu instid0(VALU_DEP_3) | instskip(SKIP_1) | instid1(VALU_DEP_4)
	v_pk_fma_f16 v73, v42, v25, v33
	v_and_or_b32 v42, v59, s5, 0x64006400
	v_dot2acc_f32_f16 v46, v84, v44
	v_lshrrev_b32_e32 v44, 8, v58
	v_pk_fma_f16 v74, v43, v27, v37
	s_delay_alu instid0(VALU_DEP_4)
	v_pk_fma_f16 v77, v42, v26, v36
	v_and_or_b32 v43, v59, s16, 0x64006400
	v_dot2acc_f32_f16 v46, v85, v45
	v_and_or_b32 v45, v44, s5, 0x64006400
	v_and_or_b32 v44, v44, s16, 0x64006400
	;; [unrolled: 1-line block ×3, first 2 shown]
	v_pk_fma_f16 v78, v43, v28, v38
	v_add_f32_e32 v72, v46, v57
	v_mov_b32_e32 v46, 0
	ds_load_b128 v[55:58], v41 offset:1072
	v_pk_fma_f16 v75, v45, v25, v33
	v_pk_fma_f16 v76, v44, v27, v37
	v_lshrrev_b32_e32 v44, 8, v59
	s_waitcnt lgkmcnt(1)
	v_dot2acc_f32_f16 v46, v73, v50
	v_and_or_b32 v43, v60, s16, 0x64006400
	v_pk_fma_f16 v81, v42, v29, v34
	v_and_or_b32 v42, v61, s5, 0x64006400
	v_and_or_b32 v45, v44, s5, 0x64006400
	v_dot2acc_f32_f16 v46, v74, v51
	v_and_or_b32 v44, v44, s16, 0x64006400
	v_pk_fma_f16 v82, v43, v30, v39
	v_and_or_b32 v43, v61, s16, 0x64006400
	v_pk_fma_f16 v79, v45, v26, v36
	v_dot2acc_f32_f16 v46, v75, v52
	v_pk_fma_f16 v80, v44, v28, v38
	v_lshrrev_b32_e32 v44, 8, v60
	v_pk_fma_f16 v85, v43, v32, v40
	s_delay_alu instid0(VALU_DEP_4) | instskip(NEXT) | instid1(VALU_DEP_3)
	v_dot2acc_f32_f16 v46, v76, v53
	v_and_or_b32 v45, v44, s5, 0x64006400
	v_and_or_b32 v44, v44, s16, 0x64006400
	s_delay_alu instid0(VALU_DEP_3) | instskip(NEXT) | instid1(VALU_DEP_3)
	v_dual_add_f32 v49, v49, v46 :: v_dual_mov_b32 v46, 0
	v_pk_fma_f16 v83, v45, v29, v34
	s_delay_alu instid0(VALU_DEP_3) | instskip(SKIP_4) | instid1(VALU_DEP_4)
	v_pk_fma_f16 v84, v44, v30, v39
	v_lshrrev_b32_e32 v44, 8, v61
	v_pk_fma_f16 v61, v42, v31, v35
	v_dot2acc_f32_f16 v46, v77, v50
	v_mov_b32_e32 v42, 0
	v_and_or_b32 v45, v44, s5, 0x64006400
	v_and_or_b32 v44, v44, s16, 0x64006400
	s_delay_alu instid0(VALU_DEP_4) | instskip(NEXT) | instid1(VALU_DEP_3)
	v_dot2acc_f32_f16 v46, v78, v51
	v_pk_fma_f16 v91, v45, v31, v35
	s_delay_alu instid0(VALU_DEP_3) | instskip(NEXT) | instid1(VALU_DEP_3)
	v_pk_fma_f16 v92, v44, v32, v40
	v_dot2acc_f32_f16 v46, v79, v52
	s_delay_alu instid0(VALU_DEP_1) | instskip(NEXT) | instid1(VALU_DEP_1)
	v_dot2acc_f32_f16 v46, v80, v53
	v_add_f32_e32 v48, v46, v48
	v_mov_b32_e32 v46, 0
	s_delay_alu instid0(VALU_DEP_1) | instskip(NEXT) | instid1(VALU_DEP_1)
	v_dot2acc_f32_f16 v46, v81, v50
	v_dot2acc_f32_f16 v46, v82, v51
	s_delay_alu instid0(VALU_DEP_1) | instskip(NEXT) | instid1(VALU_DEP_1)
	v_dot2acc_f32_f16 v46, v83, v52
	v_dot2acc_f32_f16 v46, v84, v53
	s_delay_alu instid0(VALU_DEP_1) | instskip(NEXT) | instid1(VALU_DEP_1)
	v_dual_add_f32 v46, v46, v47 :: v_dual_mov_b32 v47, 0
	v_dual_dot2acc_f32_f16 v47, v61, v50 :: v_dual_mov_b32 v50, 0
	s_delay_alu instid0(VALU_DEP_1) | instskip(SKIP_1) | instid1(VALU_DEP_2)
	v_dot2acc_f32_f16 v47, v85, v51
	s_waitcnt lgkmcnt(0)
	v_dual_mov_b32 v51, 0 :: v_dual_dot2acc_f32_f16 v50, v73, v55
	s_delay_alu instid0(VALU_DEP_2) | instskip(NEXT) | instid1(VALU_DEP_2)
	v_dual_dot2acc_f32_f16 v47, v91, v52 :: v_dual_mov_b32 v52, 0
	v_dual_dot2acc_f32_f16 v51, v77, v55 :: v_dual_dot2acc_f32_f16 v50, v74, v56
	s_delay_alu instid0(VALU_DEP_2) | instskip(NEXT) | instid1(VALU_DEP_3)
	v_dot2acc_f32_f16 v47, v92, v53
	v_dual_mov_b32 v53, 0 :: v_dual_dot2acc_f32_f16 v52, v81, v55
	s_delay_alu instid0(VALU_DEP_3) | instskip(NEXT) | instid1(VALU_DEP_3)
	v_dual_dot2acc_f32_f16 v51, v78, v56 :: v_dual_dot2acc_f32_f16 v50, v75, v57
	v_add_f32_e32 v47, v47, v63
	s_delay_alu instid0(VALU_DEP_3) | instskip(NEXT) | instid1(VALU_DEP_3)
	v_dual_dot2acc_f32_f16 v53, v61, v55 :: v_dual_dot2acc_f32_f16 v52, v82, v56
	v_dual_dot2acc_f32_f16 v51, v79, v57 :: v_dual_dot2acc_f32_f16 v50, v76, v58
	v_mov_b32_e32 v55, 0
	s_delay_alu instid0(VALU_DEP_3) | instskip(NEXT) | instid1(VALU_DEP_3)
	v_dual_dot2acc_f32_f16 v53, v85, v56 :: v_dual_dot2acc_f32_f16 v52, v83, v57
	v_dual_dot2acc_f32_f16 v51, v80, v58 :: v_dual_mov_b32 v56, 0
	s_delay_alu instid0(VALU_DEP_2) | instskip(NEXT) | instid1(VALU_DEP_2)
	v_dual_add_f32 v50, v64, v50 :: v_dual_dot2acc_f32_f16 v53, v91, v57
	v_dual_dot2acc_f32_f16 v52, v84, v58 :: v_dual_add_f32 v51, v51, v65
	s_delay_alu instid0(VALU_DEP_2) | instskip(SKIP_4) | instid1(VALU_DEP_1)
	v_dot2acc_f32_f16 v53, v92, v58
	ds_load_b128 v[57:60], v41 offset:1600
	v_dual_add_f32 v52, v52, v89 :: v_dual_add_f32 v53, v53, v90
	s_waitcnt lgkmcnt(0)
	v_dot2acc_f32_f16 v55, v73, v57
	v_dual_dot2acc_f32_f16 v56, v81, v57 :: v_dual_dot2acc_f32_f16 v55, v74, v58
	v_dot2acc_f32_f16 v42, v73, v66
	s_delay_alu instid0(VALU_DEP_2) | instskip(NEXT) | instid1(VALU_DEP_2)
	v_dual_dot2acc_f32_f16 v56, v82, v58 :: v_dual_dot2acc_f32_f16 v55, v75, v59
	v_dot2acc_f32_f16 v42, v74, v67
	s_delay_alu instid0(VALU_DEP_2) | instskip(NEXT) | instid1(VALU_DEP_2)
	v_dual_dot2acc_f32_f16 v56, v83, v59 :: v_dual_dot2acc_f32_f16 v55, v76, v60
	v_dot2acc_f32_f16 v42, v75, v68
	s_delay_alu instid0(VALU_DEP_2) | instskip(NEXT) | instid1(VALU_DEP_3)
	v_dot2acc_f32_f16 v56, v84, v60
	v_dual_add_f32 v54, v54, v55 :: v_dual_mov_b32 v55, 0
	s_delay_alu instid0(VALU_DEP_1) | instskip(NEXT) | instid1(VALU_DEP_1)
	v_dual_add_f32 v56, v56, v71 :: v_dual_dot2acc_f32_f16 v55, v77, v57
	v_dual_dot2acc_f32_f16 v42, v76, v69 :: v_dual_dot2acc_f32_f16 v55, v78, v58
	s_delay_alu instid0(VALU_DEP_1) | instskip(NEXT) | instid1(VALU_DEP_1)
	v_dual_add_f32 v45, v86, v42 :: v_dual_mov_b32 v42, 0
	v_dual_dot2acc_f32_f16 v55, v79, v59 :: v_dual_dot2acc_f32_f16 v42, v77, v66
	s_delay_alu instid0(VALU_DEP_1) | instskip(NEXT) | instid1(VALU_DEP_1)
	v_dual_dot2acc_f32_f16 v55, v80, v60 :: v_dual_dot2acc_f32_f16 v42, v78, v67
	v_add_f32_e32 v55, v55, v70
	s_delay_alu instid0(VALU_DEP_2) | instskip(NEXT) | instid1(VALU_DEP_1)
	v_dot2acc_f32_f16 v42, v79, v68
	v_dot2acc_f32_f16 v42, v80, v69
	s_delay_alu instid0(VALU_DEP_1) | instskip(SKIP_1) | instid1(VALU_DEP_1)
	v_add_f32_e32 v44, v42, v87
	v_mov_b32_e32 v42, 0
	v_dot2acc_f32_f16 v42, v81, v66
	s_delay_alu instid0(VALU_DEP_1) | instskip(NEXT) | instid1(VALU_DEP_1)
	v_dot2acc_f32_f16 v42, v82, v67
	v_dot2acc_f32_f16 v42, v83, v68
	s_delay_alu instid0(VALU_DEP_1) | instskip(NEXT) | instid1(VALU_DEP_1)
	v_dot2acc_f32_f16 v42, v84, v69
	v_dual_add_f32 v43, v42, v88 :: v_dual_mov_b32 v42, 0
	s_delay_alu instid0(VALU_DEP_1) | instskip(NEXT) | instid1(VALU_DEP_1)
	v_dot2acc_f32_f16 v42, v61, v66
	v_dot2acc_f32_f16 v42, v85, v67
	s_delay_alu instid0(VALU_DEP_1) | instskip(NEXT) | instid1(VALU_DEP_1)
	v_dot2acc_f32_f16 v42, v91, v68
	v_dot2acc_f32_f16 v42, v92, v69
	s_delay_alu instid0(VALU_DEP_1) | instskip(SKIP_1) | instid1(VALU_DEP_1)
	v_add_f32_e32 v42, v42, v62
	v_mov_b32_e32 v62, 0
	v_dot2acc_f32_f16 v62, v61, v57
	s_delay_alu instid0(VALU_DEP_1) | instskip(SKIP_2) | instid1(VALU_DEP_2)
	v_dot2acc_f32_f16 v62, v85, v58
	s_waitcnt vmcnt(1)
	v_and_or_b32 v58, v12, s5, 0x64006400
	v_dot2acc_f32_f16 v62, v91, v59
	v_and_or_b32 v59, v12, s16, 0x64006400
	v_lshrrev_b32_e32 v12, 8, v12
	s_delay_alu instid0(VALU_DEP_4) | instskip(NEXT) | instid1(VALU_DEP_4)
	v_pk_fma_f16 v58, v58, v25, v33
	v_dot2acc_f32_f16 v62, v92, v60
	s_delay_alu instid0(VALU_DEP_4) | instskip(NEXT) | instid1(VALU_DEP_4)
	v_pk_fma_f16 v59, v59, v27, v37
	v_and_or_b32 v60, v12, s5, 0x64006400
	v_and_or_b32 v12, v12, s16, 0x64006400
	s_delay_alu instid0(VALU_DEP_4) | instskip(SKIP_1) | instid1(VALU_DEP_4)
	v_add_f32_e32 v57, v62, v72
	v_and_or_b32 v62, v13, s16, 0x64006400
	v_pk_fma_f16 v60, v60, v25, v33
	s_delay_alu instid0(VALU_DEP_4) | instskip(SKIP_3) | instid1(VALU_DEP_3)
	v_pk_fma_f16 v61, v12, v27, v37
	v_and_or_b32 v12, v13, s5, 0x64006400
	v_lshrrev_b32_e32 v13, 8, v13
	v_pk_fma_f16 v65, v62, v28, v38
	v_pk_fma_f16 v64, v12, v26, v36
	v_and_or_b32 v12, v14, s5, 0x64006400
	s_delay_alu instid0(VALU_DEP_4) | instskip(SKIP_1) | instid1(VALU_DEP_3)
	v_and_or_b32 v63, v13, s5, 0x64006400
	v_and_or_b32 v13, v13, s16, 0x64006400
	v_pk_fma_f16 v68, v12, v29, v34
	v_and_or_b32 v12, v15, s5, 0x64006400
	s_delay_alu instid0(VALU_DEP_4) | instskip(NEXT) | instid1(VALU_DEP_4)
	v_pk_fma_f16 v66, v63, v26, v36
	v_pk_fma_f16 v67, v13, v28, v38
	v_and_or_b32 v13, v14, s16, 0x64006400
	v_lshrrev_b32_e32 v14, 8, v14
	v_pk_fma_f16 v72, v12, v31, v35
	v_mov_b32_e32 v12, 0
	s_delay_alu instid0(VALU_DEP_4) | instskip(NEXT) | instid1(VALU_DEP_4)
	v_pk_fma_f16 v69, v13, v30, v39
	v_and_or_b32 v62, v14, s5, 0x64006400
	v_and_or_b32 v14, v14, s16, 0x64006400
	s_delay_alu instid0(VALU_DEP_4) | instskip(SKIP_1) | instid1(VALU_DEP_4)
	v_dot2acc_f32_f16 v12, v58, v8
	v_and_or_b32 v13, v15, s16, 0x64006400
	v_pk_fma_f16 v70, v62, v29, v34
	s_delay_alu instid0(VALU_DEP_4) | instskip(NEXT) | instid1(VALU_DEP_4)
	v_pk_fma_f16 v71, v14, v30, v39
	v_dot2acc_f32_f16 v12, v59, v9
	v_lshrrev_b32_e32 v14, 8, v15
	v_pk_fma_f16 v73, v13, v32, v40
	s_delay_alu instid0(VALU_DEP_3) | instskip(NEXT) | instid1(VALU_DEP_3)
	v_dot2acc_f32_f16 v12, v60, v10
	v_and_or_b32 v15, v14, s5, 0x64006400
	v_and_or_b32 v14, v14, s16, 0x64006400
	s_delay_alu instid0(VALU_DEP_3) | instskip(NEXT) | instid1(VALU_DEP_3)
	v_dot2acc_f32_f16 v12, v61, v11
	v_pk_fma_f16 v74, v15, v31, v35
	s_delay_alu instid0(VALU_DEP_3) | instskip(NEXT) | instid1(VALU_DEP_3)
	v_pk_fma_f16 v75, v14, v32, v40
	v_dual_add_f32 v45, v45, v12 :: v_dual_mov_b32 v12, 0
	s_delay_alu instid0(VALU_DEP_1) | instskip(NEXT) | instid1(VALU_DEP_1)
	v_dot2acc_f32_f16 v12, v64, v8
	v_dot2acc_f32_f16 v12, v65, v9
	s_delay_alu instid0(VALU_DEP_1) | instskip(NEXT) | instid1(VALU_DEP_1)
	v_dot2acc_f32_f16 v12, v66, v10
	v_dot2acc_f32_f16 v12, v67, v11
	s_delay_alu instid0(VALU_DEP_1) | instskip(SKIP_1) | instid1(VALU_DEP_1)
	v_add_f32_e32 v44, v12, v44
	v_mov_b32_e32 v12, 0
	v_dot2acc_f32_f16 v12, v68, v8
	s_delay_alu instid0(VALU_DEP_1) | instskip(NEXT) | instid1(VALU_DEP_1)
	v_dot2acc_f32_f16 v12, v69, v9
	v_dot2acc_f32_f16 v12, v70, v10
	s_delay_alu instid0(VALU_DEP_1) | instskip(NEXT) | instid1(VALU_DEP_1)
	v_dot2acc_f32_f16 v12, v71, v11
	v_dual_add_f32 v43, v12, v43 :: v_dual_mov_b32 v12, 0
	s_delay_alu instid0(VALU_DEP_1) | instskip(NEXT) | instid1(VALU_DEP_1)
	v_dot2acc_f32_f16 v12, v72, v8
	v_dot2acc_f32_f16 v12, v73, v9
	s_delay_alu instid0(VALU_DEP_1) | instskip(NEXT) | instid1(VALU_DEP_1)
	v_dot2acc_f32_f16 v12, v74, v10
	v_dot2acc_f32_f16 v12, v75, v11
	ds_load_b128 v[8:11], v41 offset:560
	v_add_f32_e32 v42, v12, v42
	v_mov_b32_e32 v12, 0
	s_waitcnt lgkmcnt(0)
	s_delay_alu instid0(VALU_DEP_1) | instskip(NEXT) | instid1(VALU_DEP_1)
	v_dot2acc_f32_f16 v12, v58, v8
	v_dot2acc_f32_f16 v12, v59, v9
	s_delay_alu instid0(VALU_DEP_1) | instskip(NEXT) | instid1(VALU_DEP_1)
	v_dot2acc_f32_f16 v12, v60, v10
	v_dot2acc_f32_f16 v12, v61, v11
	s_delay_alu instid0(VALU_DEP_1) | instskip(NEXT) | instid1(VALU_DEP_1)
	v_dual_add_f32 v49, v49, v12 :: v_dual_mov_b32 v12, 0
	v_dot2acc_f32_f16 v12, v64, v8
	s_delay_alu instid0(VALU_DEP_1) | instskip(NEXT) | instid1(VALU_DEP_1)
	v_dot2acc_f32_f16 v12, v65, v9
	v_dot2acc_f32_f16 v12, v66, v10
	s_delay_alu instid0(VALU_DEP_1) | instskip(NEXT) | instid1(VALU_DEP_1)
	v_dot2acc_f32_f16 v12, v67, v11
	v_add_f32_e32 v48, v12, v48
	v_mov_b32_e32 v12, 0
	s_delay_alu instid0(VALU_DEP_1) | instskip(NEXT) | instid1(VALU_DEP_1)
	v_dot2acc_f32_f16 v12, v68, v8
	v_dot2acc_f32_f16 v12, v69, v9
	s_delay_alu instid0(VALU_DEP_1) | instskip(NEXT) | instid1(VALU_DEP_1)
	v_dot2acc_f32_f16 v12, v70, v10
	v_dot2acc_f32_f16 v12, v71, v11
	s_delay_alu instid0(VALU_DEP_1) | instskip(SKIP_1) | instid1(VALU_DEP_1)
	v_add_f32_e32 v46, v12, v46
	v_mov_b32_e32 v12, 0
	v_dot2acc_f32_f16 v12, v72, v8
	s_delay_alu instid0(VALU_DEP_1) | instskip(NEXT) | instid1(VALU_DEP_1)
	v_dot2acc_f32_f16 v12, v73, v9
	v_dot2acc_f32_f16 v12, v74, v10
	s_delay_alu instid0(VALU_DEP_1) | instskip(SKIP_4) | instid1(VALU_DEP_1)
	v_dot2acc_f32_f16 v12, v75, v11
	ds_load_b128 v[8:11], v41 offset:1088
	v_add_f32_e32 v76, v12, v47
	v_mov_b32_e32 v12, 0
	s_waitcnt lgkmcnt(0)
	v_dot2acc_f32_f16 v12, v58, v8
	s_delay_alu instid0(VALU_DEP_1) | instskip(NEXT) | instid1(VALU_DEP_1)
	v_dot2acc_f32_f16 v12, v59, v9
	v_dot2acc_f32_f16 v12, v60, v10
	s_delay_alu instid0(VALU_DEP_1) | instskip(NEXT) | instid1(VALU_DEP_1)
	v_dot2acc_f32_f16 v12, v61, v11
	v_add_f32_e32 v50, v50, v12
	v_mov_b32_e32 v12, 0
	s_delay_alu instid0(VALU_DEP_1) | instskip(NEXT) | instid1(VALU_DEP_1)
	v_dot2acc_f32_f16 v12, v64, v8
	v_dot2acc_f32_f16 v12, v65, v9
	s_delay_alu instid0(VALU_DEP_1) | instskip(NEXT) | instid1(VALU_DEP_1)
	v_dot2acc_f32_f16 v12, v66, v10
	v_dot2acc_f32_f16 v12, v67, v11
	s_delay_alu instid0(VALU_DEP_1) | instskip(NEXT) | instid1(VALU_DEP_1)
	v_dual_add_f32 v51, v12, v51 :: v_dual_mov_b32 v12, 0
	v_dot2acc_f32_f16 v12, v68, v8
	s_delay_alu instid0(VALU_DEP_1) | instskip(NEXT) | instid1(VALU_DEP_1)
	v_dot2acc_f32_f16 v12, v69, v9
	v_dot2acc_f32_f16 v12, v70, v10
	s_delay_alu instid0(VALU_DEP_1) | instskip(NEXT) | instid1(VALU_DEP_1)
	v_dot2acc_f32_f16 v12, v71, v11
	v_add_f32_e32 v62, v12, v52
	v_mov_b32_e32 v12, 0
	s_delay_alu instid0(VALU_DEP_1) | instskip(SKIP_1) | instid1(VALU_DEP_2)
	v_dot2acc_f32_f16 v12, v72, v8
	v_mov_b32_e32 v8, 0
	v_dot2acc_f32_f16 v12, v73, v9
	s_delay_alu instid0(VALU_DEP_1) | instskip(NEXT) | instid1(VALU_DEP_1)
	v_dot2acc_f32_f16 v12, v74, v10
	v_dot2acc_f32_f16 v12, v75, v11
	s_delay_alu instid0(VALU_DEP_1) | instskip(SKIP_3) | instid1(VALU_DEP_1)
	v_add_f32_e32 v63, v12, v53
	ds_load_b128 v[12:15], v41 offset:1616
	s_waitcnt lgkmcnt(0)
	v_dot2acc_f32_f16 v8, v58, v12
	v_dot2acc_f32_f16 v8, v59, v13
	s_delay_alu instid0(VALU_DEP_1) | instskip(NEXT) | instid1(VALU_DEP_1)
	v_dot2acc_f32_f16 v8, v60, v14
	v_dot2acc_f32_f16 v8, v61, v15
	s_delay_alu instid0(VALU_DEP_1) | instskip(NEXT) | instid1(VALU_DEP_1)
	v_dual_add_f32 v11, v54, v8 :: v_dual_mov_b32 v8, 0
	v_dot2acc_f32_f16 v8, v64, v12
	s_delay_alu instid0(VALU_DEP_1) | instskip(NEXT) | instid1(VALU_DEP_1)
	v_dot2acc_f32_f16 v8, v65, v13
	v_dot2acc_f32_f16 v8, v66, v14
	s_delay_alu instid0(VALU_DEP_1) | instskip(NEXT) | instid1(VALU_DEP_1)
	v_dot2acc_f32_f16 v8, v67, v15
	v_add_f32_e32 v10, v8, v55
	v_mov_b32_e32 v8, 0
	s_delay_alu instid0(VALU_DEP_1) | instskip(NEXT) | instid1(VALU_DEP_1)
	v_dot2acc_f32_f16 v8, v68, v12
	v_dot2acc_f32_f16 v8, v69, v13
	s_delay_alu instid0(VALU_DEP_1) | instskip(NEXT) | instid1(VALU_DEP_1)
	v_dot2acc_f32_f16 v8, v70, v14
	v_dot2acc_f32_f16 v8, v71, v15
	s_delay_alu instid0(VALU_DEP_1) | instskip(NEXT) | instid1(VALU_DEP_1)
	v_dual_add_f32 v9, v8, v56 :: v_dual_mov_b32 v8, 0
	v_dot2acc_f32_f16 v8, v72, v12
	s_waitcnt vmcnt(0)
	v_and_or_b32 v12, v0, s5, 0x64006400
	s_delay_alu instid0(VALU_DEP_2) | instskip(SKIP_2) | instid1(VALU_DEP_4)
	v_dot2acc_f32_f16 v8, v73, v13
	v_and_or_b32 v13, v0, s16, 0x64006400
	v_lshrrev_b32_e32 v0, 8, v0
	v_pk_fma_f16 v54, v12, v25, v33
	v_and_or_b32 v12, v1, s16, 0x64006400
	v_dot2acc_f32_f16 v8, v74, v14
	v_pk_fma_f16 v59, v13, v27, v37
	v_and_or_b32 v14, v0, s5, 0x64006400
	v_and_or_b32 v0, v0, s16, 0x64006400
	v_pk_fma_f16 v56, v12, v28, v38
	v_dot2acc_f32_f16 v8, v75, v15
	s_delay_alu instid0(VALU_DEP_4) | instskip(NEXT) | instid1(VALU_DEP_4)
	v_pk_fma_f16 v60, v14, v25, v33
	v_pk_fma_f16 v61, v0, v27, v37
	v_and_or_b32 v0, v1, s5, 0x64006400
	v_lshrrev_b32_e32 v1, 8, v1
	v_add_f32_e32 v8, v8, v57
	s_delay_alu instid0(VALU_DEP_3) | instskip(NEXT) | instid1(VALU_DEP_3)
	v_pk_fma_f16 v55, v0, v26, v36
	v_and_or_b32 v13, v1, s5, 0x64006400
	v_and_or_b32 v1, v1, s16, 0x64006400
	v_and_or_b32 v0, v2, s5, 0x64006400
	s_delay_alu instid0(VALU_DEP_3) | instskip(NEXT) | instid1(VALU_DEP_3)
	v_pk_fma_f16 v57, v13, v26, v36
	v_pk_fma_f16 v58, v1, v28, v38
	v_and_or_b32 v1, v2, s16, 0x64006400
	v_lshrrev_b32_e32 v2, 8, v2
	v_pk_fma_f16 v12, v0, v29, v34
	v_and_or_b32 v0, v3, s5, 0x64006400
	s_delay_alu instid0(VALU_DEP_4) | instskip(NEXT) | instid1(VALU_DEP_4)
	v_pk_fma_f16 v13, v1, v30, v39
	v_and_or_b32 v14, v2, s5, 0x64006400
	v_and_or_b32 v2, v2, s16, 0x64006400
	;; [unrolled: 1-line block ×3, first 2 shown]
	s_delay_alu instid0(VALU_DEP_3) | instskip(NEXT) | instid1(VALU_DEP_3)
	v_pk_fma_f16 v14, v14, v29, v34
	v_pk_fma_f16 v15, v2, v30, v39
	v_lshrrev_b32_e32 v2, 8, v3
	v_pk_fma_f16 v3, v0, v31, v35
	s_delay_alu instid0(VALU_DEP_2) | instskip(SKIP_2) | instid1(VALU_DEP_3)
	v_and_or_b32 v47, v2, s5, 0x64006400
	v_and_or_b32 v52, v2, s16, 0x64006400
	v_pk_fma_f16 v2, v1, v32, v40
	v_pk_fma_f16 v1, v47, v31, v35
	v_mov_b32_e32 v47, 0
	s_delay_alu instid0(VALU_DEP_4) | instskip(NEXT) | instid1(VALU_DEP_2)
	v_pk_fma_f16 v0, v52, v32, v40
	v_dual_mov_b32 v52, 0 :: v_dual_dot2acc_f32_f16 v47, v54, v4
	s_delay_alu instid0(VALU_DEP_1) | instskip(NEXT) | instid1(VALU_DEP_1)
	v_dot2acc_f32_f16 v47, v59, v5
	v_dot2acc_f32_f16 v47, v60, v6
	s_delay_alu instid0(VALU_DEP_1) | instskip(NEXT) | instid1(VALU_DEP_1)
	v_dot2acc_f32_f16 v47, v61, v7
	v_add_f32_e32 v45, v45, v47
	v_mov_b32_e32 v47, 0
	s_delay_alu instid0(VALU_DEP_1) | instskip(NEXT) | instid1(VALU_DEP_1)
	v_dot2acc_f32_f16 v47, v55, v4
	v_dot2acc_f32_f16 v47, v56, v5
	s_delay_alu instid0(VALU_DEP_1) | instskip(NEXT) | instid1(VALU_DEP_1)
	v_dot2acc_f32_f16 v47, v57, v6
	v_dot2acc_f32_f16 v47, v58, v7
	s_delay_alu instid0(VALU_DEP_1) | instskip(NEXT) | instid1(VALU_DEP_1)
	v_dual_add_f32 v44, v47, v44 :: v_dual_mov_b32 v47, 0
	v_dot2acc_f32_f16 v47, v12, v4
	s_delay_alu instid0(VALU_DEP_1) | instskip(NEXT) | instid1(VALU_DEP_1)
	v_dot2acc_f32_f16 v47, v13, v5
	v_dot2acc_f32_f16 v47, v14, v6
	s_delay_alu instid0(VALU_DEP_1) | instskip(NEXT) | instid1(VALU_DEP_1)
	v_dot2acc_f32_f16 v47, v15, v7
	v_add_f32_e32 v43, v47, v43
	v_mov_b32_e32 v47, 0
	s_delay_alu instid0(VALU_DEP_1) | instskip(NEXT) | instid1(VALU_DEP_1)
	v_dot2acc_f32_f16 v47, v3, v4
	v_dot2acc_f32_f16 v47, v2, v5
	s_delay_alu instid0(VALU_DEP_1) | instskip(NEXT) | instid1(VALU_DEP_1)
	v_dot2acc_f32_f16 v47, v1, v6
	v_dot2acc_f32_f16 v47, v0, v7
	ds_load_b128 v[4:7], v41 offset:576
	v_dual_add_f32 v42, v47, v42 :: v_dual_mov_b32 v47, 0
	s_waitcnt lgkmcnt(0)
	s_delay_alu instid0(VALU_DEP_1) | instskip(NEXT) | instid1(VALU_DEP_1)
	v_dot2acc_f32_f16 v47, v54, v4
	v_dot2acc_f32_f16 v47, v59, v5
	s_delay_alu instid0(VALU_DEP_1) | instskip(NEXT) | instid1(VALU_DEP_1)
	v_dot2acc_f32_f16 v47, v60, v6
	v_dot2acc_f32_f16 v47, v61, v7
	s_delay_alu instid0(VALU_DEP_1) | instskip(SKIP_1) | instid1(VALU_DEP_1)
	v_add_f32_e32 v49, v49, v47
	v_mov_b32_e32 v47, 0
	v_dot2acc_f32_f16 v47, v55, v4
	s_delay_alu instid0(VALU_DEP_1) | instskip(NEXT) | instid1(VALU_DEP_1)
	v_dot2acc_f32_f16 v47, v56, v5
	v_dot2acc_f32_f16 v47, v57, v6
	s_delay_alu instid0(VALU_DEP_1) | instskip(NEXT) | instid1(VALU_DEP_1)
	v_dot2acc_f32_f16 v47, v58, v7
	v_dual_add_f32 v48, v47, v48 :: v_dual_mov_b32 v47, 0
	s_delay_alu instid0(VALU_DEP_1) | instskip(NEXT) | instid1(VALU_DEP_1)
	v_dot2acc_f32_f16 v47, v12, v4
	v_dot2acc_f32_f16 v47, v13, v5
	s_delay_alu instid0(VALU_DEP_1) | instskip(NEXT) | instid1(VALU_DEP_1)
	v_dot2acc_f32_f16 v47, v14, v6
	v_dot2acc_f32_f16 v47, v15, v7
	s_delay_alu instid0(VALU_DEP_1) | instskip(NEXT) | instid1(VALU_DEP_1)
	v_dual_add_f32 v47, v47, v46 :: v_dual_mov_b32 v46, 0
	v_dot2acc_f32_f16 v46, v3, v4
	s_delay_alu instid0(VALU_DEP_1) | instskip(NEXT) | instid1(VALU_DEP_1)
	v_dot2acc_f32_f16 v46, v2, v5
	v_dot2acc_f32_f16 v46, v1, v6
	s_delay_alu instid0(VALU_DEP_1) | instskip(SKIP_4) | instid1(VALU_DEP_1)
	v_dot2acc_f32_f16 v46, v0, v7
	ds_load_b128 v[4:7], v41 offset:1104
	v_add_f32_e32 v46, v46, v76
	s_waitcnt lgkmcnt(0)
	v_dot2acc_f32_f16 v52, v54, v4
	v_dot2acc_f32_f16 v52, v59, v5
	s_delay_alu instid0(VALU_DEP_1) | instskip(NEXT) | instid1(VALU_DEP_1)
	v_dot2acc_f32_f16 v52, v60, v6
	v_dot2acc_f32_f16 v52, v61, v7
	s_delay_alu instid0(VALU_DEP_1) | instskip(NEXT) | instid1(VALU_DEP_1)
	v_dual_add_f32 v53, v50, v52 :: v_dual_mov_b32 v50, 0
	v_dot2acc_f32_f16 v50, v55, v4
	s_delay_alu instid0(VALU_DEP_1) | instskip(NEXT) | instid1(VALU_DEP_1)
	v_dot2acc_f32_f16 v50, v56, v5
	v_dot2acc_f32_f16 v50, v57, v6
	s_delay_alu instid0(VALU_DEP_1) | instskip(NEXT) | instid1(VALU_DEP_1)
	v_dot2acc_f32_f16 v50, v58, v7
	v_add_f32_e32 v52, v50, v51
	v_mov_b32_e32 v50, 0
	s_delay_alu instid0(VALU_DEP_1) | instskip(NEXT) | instid1(VALU_DEP_1)
	v_dot2acc_f32_f16 v50, v12, v4
	v_dot2acc_f32_f16 v50, v13, v5
	s_delay_alu instid0(VALU_DEP_1) | instskip(NEXT) | instid1(VALU_DEP_1)
	v_dot2acc_f32_f16 v50, v14, v6
	v_dot2acc_f32_f16 v50, v15, v7
	s_delay_alu instid0(VALU_DEP_1) | instskip(NEXT) | instid1(VALU_DEP_1)
	v_dual_add_f32 v51, v50, v62 :: v_dual_mov_b32 v50, 0
	v_dot2acc_f32_f16 v50, v3, v4
	s_delay_alu instid0(VALU_DEP_1) | instskip(NEXT) | instid1(VALU_DEP_1)
	v_dot2acc_f32_f16 v50, v2, v5
	v_dot2acc_f32_f16 v50, v1, v6
	s_delay_alu instid0(VALU_DEP_1) | instskip(SKIP_3) | instid1(VALU_DEP_1)
	v_dot2acc_f32_f16 v50, v0, v7
	ds_load_b128 v[4:7], v41 offset:1632
	v_dual_mov_b32 v41, 0 :: v_dual_add_f32 v50, v50, v63
	s_waitcnt lgkmcnt(0)
	v_dot2acc_f32_f16 v41, v54, v4
	s_delay_alu instid0(VALU_DEP_1) | instskip(NEXT) | instid1(VALU_DEP_1)
	v_dot2acc_f32_f16 v41, v59, v5
	v_dot2acc_f32_f16 v41, v60, v6
	s_delay_alu instid0(VALU_DEP_1) | instskip(NEXT) | instid1(VALU_DEP_1)
	v_dot2acc_f32_f16 v41, v61, v7
	v_dual_add_f32 v54, v11, v41 :: v_dual_mov_b32 v11, 0
	s_delay_alu instid0(VALU_DEP_1) | instskip(NEXT) | instid1(VALU_DEP_1)
	v_dot2acc_f32_f16 v11, v55, v4
	v_dot2acc_f32_f16 v11, v56, v5
	s_delay_alu instid0(VALU_DEP_1) | instskip(NEXT) | instid1(VALU_DEP_1)
	v_dot2acc_f32_f16 v11, v57, v6
	v_dot2acc_f32_f16 v11, v58, v7
	s_delay_alu instid0(VALU_DEP_1) | instskip(NEXT) | instid1(VALU_DEP_1)
	v_dual_add_f32 v55, v11, v10 :: v_dual_mov_b32 v10, 0
	v_dot2acc_f32_f16 v10, v12, v4
	s_delay_alu instid0(VALU_DEP_1) | instskip(NEXT) | instid1(VALU_DEP_1)
	v_dot2acc_f32_f16 v10, v13, v5
	v_dot2acc_f32_f16 v10, v14, v6
	s_delay_alu instid0(VALU_DEP_1) | instskip(NEXT) | instid1(VALU_DEP_1)
	v_dot2acc_f32_f16 v10, v15, v7
	v_dual_add_f32 v56, v10, v9 :: v_dual_mov_b32 v9, 0
	s_delay_alu instid0(VALU_DEP_1) | instskip(NEXT) | instid1(VALU_DEP_1)
	v_dot2acc_f32_f16 v9, v3, v4
	v_dot2acc_f32_f16 v9, v2, v5
	s_delay_alu instid0(VALU_DEP_1) | instskip(NEXT) | instid1(VALU_DEP_1)
	v_dot2acc_f32_f16 v9, v1, v6
	v_dot2acc_f32_f16 v9, v0, v7
	s_delay_alu instid0(VALU_DEP_1)
	v_add_f32_e32 v57, v9, v8
	s_cbranch_scc1 .LBB2_28
.LBB2_26:                               ; =>This Inner Loop Header: Depth=1
	s_cmp_lg_u32 s15, s4
	s_cbranch_scc1 .LBB2_25
; %bb.27:                               ;   in Loop: Header=BB2_26 Depth=1
	s_add_i32 s14, s14, 1
	s_add_i32 s4, s4, s10
	s_mul_i32 s18, s14, s11
	s_mul_i32 s22, s14, s9
	s_ashr_i32 s19, s18, 31
	s_ashr_i32 s23, s22, 31
	s_lshl_b64 s[18:19], s[18:19], 2
	s_delay_alu instid0(SALU_CYCLE_1) | instskip(SKIP_2) | instid1(SALU_CYCLE_1)
	v_add_co_u32 v0, vcc_lo, v23, s18
	v_add_co_ci_u32_e32 v1, vcc_lo, s19, v24, vcc_lo
	s_lshl_b64 s[18:19], s[22:23], 1
	v_add_co_u32 v2, vcc_lo, v20, s18
	v_add_co_ci_u32_e32 v3, vcc_lo, s19, v21, vcc_lo
	global_load_b32 v4, v[0:1], off
	global_load_b64 v[0:1], v[2:3], off
	s_waitcnt vmcnt(1)
	v_lshrrev_b32_e32 v2, v22, v4
	v_bfe_u32 v3, v4, v22, 4
	s_waitcnt vmcnt(0)
	v_alignbit_b32 v4, s0, v0, 16
	v_alignbit_b32 v5, s0, v1, 16
	v_perm_b32 v25, v0, v0, 0x5040100
	v_bfe_u32 v6, v2, 4, 4
	v_add_nc_u32_e32 v3, s20, v3
	v_bfe_u32 v7, v2, 8, 4
	v_bfe_u32 v2, v2, 12, 4
	v_pk_mul_f16 v27, 0x2c00, v0 op_sel_hi:[0,0]
	v_add_nc_u32_e32 v6, s20, v6
	v_cvt_f32_i32_e32 v8, v3
	v_or_b32_e32 v3, 0xffffe400, v3
	v_add_nc_u32_e32 v7, s20, v7
	v_add_nc_u32_e32 v2, s20, v2
	v_or_b32_e32 v9, 0xffffe400, v6
	v_cvt_f32_i32_e32 v6, v6
	v_pk_mul_f16 v3, v0, v3
	v_or_b32_e32 v10, 0xffffe400, v7
	v_cvt_f32_i32_e32 v7, v7
	v_or_b32_e32 v11, 0xffffe400, v2
	v_cvt_f32_i32_e32 v2, v2
	v_cvt_f16_f32_e32 v8, v8
	v_pack_b32_f16 v33, v3, v3
	v_cvt_f16_f32_e32 v3, v6
	v_cvt_f16_f32_e32 v7, v7
	;; [unrolled: 1-line block ×3, first 2 shown]
	v_sub_f16_e32 v8, 0xd400, v8
	v_perm_b32 v26, v0, v0, 0x7060302
	v_sub_f16_e32 v3, 0xd400, v3
	v_sub_f16_e32 v7, 0xd400, v7
	v_sub_f16_e32 v2, 0xd400, v2
	v_pk_mul_f16 v28, 0x2c00, v0 op_sel:[0,1] op_sel_hi:[0,1]
	v_pk_mul_f16 v6, v4, v9
	v_pk_mul_f16 v9, v1, v10
	;; [unrolled: 1-line block ×7, first 2 shown]
	v_perm_b32 v29, v1, v1, 0x5040100
	v_pk_mul_f16 v30, 0x2c00, v1 op_sel_hi:[0,0]
	v_perm_b32 v31, v1, v1, 0x7060302
	v_pack_b32_f16 v36, v6, v6
	v_pack_b32_f16 v34, v9, v9
	;; [unrolled: 1-line block ×7, first 2 shown]
	v_pk_mul_f16 v32, 0x2c00, v1 op_sel:[0,1] op_sel_hi:[0,1]
	s_branch .LBB2_25
.LBB2_28:
	v_cvt_f16_f32_e32 v25, v45
	v_cvt_f16_f32_e32 v24, v44
	;; [unrolled: 1-line block ×16, first 2 shown]
	v_add_co_u32 v14, vcc_lo, s6, v16
	v_add_co_ci_u32_e32 v15, vcc_lo, s7, v17, vcc_lo
	s_cmp_lt_i32 s12, s8
	s_cbranch_scc0 .LBB2_21
.LBB2_29:
	s_mul_i32 s0, s12, s9
	v_perm_b32 v16, v24, v25, 0x5040100
	s_ashr_i32 s1, s0, 31
	v_perm_b32 v17, v22, v23, 0x5040100
	s_lshl_b64 s[0:1], s[0:1], 1
	s_delay_alu instid0(SALU_CYCLE_1)
	v_add_co_u32 v4, vcc_lo, v14, s0
	v_add_co_ci_u32_e32 v5, vcc_lo, s1, v15, vcc_lo
	s_mov_b32 s0, 0
	global_load_b64 v[2:3], v[4:5], off
.LBB2_30:                               ; =>This Inner Loop Header: Depth=1
	s_waitcnt vmcnt(0)
	v_pk_add_f16 v0, v16, v2
	v_pk_add_f16 v1, v17, v3
	global_atomic_cmpswap_b64 v[0:1], v[4:5], v[0:3], off glc
	s_waitcnt vmcnt(0)
	v_cmp_eq_u64_e32 vcc_lo, v[0:1], v[2:3]
	v_dual_mov_b32 v3, v1 :: v_dual_mov_b32 v2, v0
	s_or_b32 s0, vcc_lo, s0
	s_delay_alu instid0(SALU_CYCLE_1)
	s_and_not1_b32 exec_lo, exec_lo, s0
	s_cbranch_execnz .LBB2_30
; %bb.31:
	s_or_b32 exec_lo, exec_lo, s0
	s_or_b32 s0, s12, 1
	s_delay_alu instid0(SALU_CYCLE_1)
	s_cmp_ge_i32 s0, s8
	s_cbranch_scc1 .LBB2_22
.LBB2_32:
	s_mul_i32 s0, s0, s9
	v_perm_b32 v16, v20, v21, 0x5040100
	s_ashr_i32 s1, s0, 31
	v_perm_b32 v17, v18, v19, 0x5040100
	s_lshl_b64 s[0:1], s[0:1], 1
	s_delay_alu instid0(SALU_CYCLE_1)
	v_add_co_u32 v4, vcc_lo, v14, s0
	v_add_co_ci_u32_e32 v5, vcc_lo, s1, v15, vcc_lo
	s_mov_b32 s0, 0
	global_load_b64 v[2:3], v[4:5], off
.LBB2_33:                               ; =>This Inner Loop Header: Depth=1
	s_waitcnt vmcnt(0)
	v_pk_add_f16 v0, v16, v2
	v_pk_add_f16 v1, v17, v3
	global_atomic_cmpswap_b64 v[0:1], v[4:5], v[0:3], off glc
	s_waitcnt vmcnt(0)
	v_cmp_eq_u64_e32 vcc_lo, v[0:1], v[2:3]
	v_dual_mov_b32 v3, v1 :: v_dual_mov_b32 v2, v0
	s_or_b32 s0, vcc_lo, s0
	s_delay_alu instid0(SALU_CYCLE_1)
	s_and_not1_b32 exec_lo, exec_lo, s0
	s_cbranch_execnz .LBB2_33
; %bb.34:
	s_or_b32 exec_lo, exec_lo, s0
	s_or_b32 s0, s12, 2
	s_delay_alu instid0(SALU_CYCLE_1)
	s_cmp_ge_i32 s0, s8
	s_cbranch_scc1 .LBB2_23
.LBB2_35:
	s_mul_i32 s0, s0, s9
	v_perm_b32 v12, v12, v13, 0x5040100
	s_ashr_i32 s1, s0, 31
	v_perm_b32 v10, v10, v11, 0x5040100
	s_lshl_b64 s[0:1], s[0:1], 1
	s_delay_alu instid0(SALU_CYCLE_1)
	v_add_co_u32 v4, vcc_lo, v14, s0
	v_add_co_ci_u32_e32 v5, vcc_lo, s1, v15, vcc_lo
	s_mov_b32 s0, 0
	global_load_b64 v[2:3], v[4:5], off
.LBB2_36:                               ; =>This Inner Loop Header: Depth=1
	s_waitcnt vmcnt(0)
	v_pk_add_f16 v0, v12, v2
	v_pk_add_f16 v1, v10, v3
	global_atomic_cmpswap_b64 v[0:1], v[4:5], v[0:3], off glc
	s_waitcnt vmcnt(0)
	v_cmp_eq_u64_e32 vcc_lo, v[0:1], v[2:3]
	v_dual_mov_b32 v3, v1 :: v_dual_mov_b32 v2, v0
	s_or_b32 s0, vcc_lo, s0
	s_delay_alu instid0(SALU_CYCLE_1)
	s_and_not1_b32 exec_lo, exec_lo, s0
	s_cbranch_execnz .LBB2_36
; %bb.37:
	s_or_b32 exec_lo, exec_lo, s0
	s_or_b32 s0, s12, 3
	s_delay_alu instid0(SALU_CYCLE_1)
	s_cmp_ge_i32 s0, s8
	s_cbranch_scc1 .LBB2_40
.LBB2_38:
	s_mul_i32 s0, s0, s9
	v_perm_b32 v8, v8, v9, 0x5040100
	s_ashr_i32 s1, s0, 31
	v_perm_b32 v6, v6, v7, 0x5040100
	s_lshl_b64 s[0:1], s[0:1], 1
	s_delay_alu instid0(SALU_CYCLE_1)
	v_add_co_u32 v4, vcc_lo, v14, s0
	v_add_co_ci_u32_e32 v5, vcc_lo, s1, v15, vcc_lo
	s_mov_b32 s0, 0
	global_load_b64 v[2:3], v[4:5], off
.LBB2_39:                               ; =>This Inner Loop Header: Depth=1
	s_waitcnt vmcnt(0)
	v_pk_add_f16 v0, v8, v2
	v_pk_add_f16 v1, v6, v3
	global_atomic_cmpswap_b64 v[0:1], v[4:5], v[0:3], off glc
	s_waitcnt vmcnt(0)
	v_cmp_eq_u64_e32 vcc_lo, v[0:1], v[2:3]
	v_dual_mov_b32 v3, v1 :: v_dual_mov_b32 v2, v0
	s_or_b32 s0, vcc_lo, s0
	s_delay_alu instid0(SALU_CYCLE_1)
	s_and_not1_b32 exec_lo, exec_lo, s0
	s_cbranch_execnz .LBB2_39
.LBB2_40:
	s_endpgm
	.section	.rodata,"a",@progbits
	.p2align	6, 0x0
	.amdhsa_kernel _ZN4vllm10gptq_rdna320gemm_q4_kernel_rdna3I6__halfLi4EEEvPKT_PKjS7_S5_PS3_iiiiiPKi
		.amdhsa_group_segment_fixed_size 2112
		.amdhsa_private_segment_fixed_size 0
		.amdhsa_kernarg_size 72
		.amdhsa_user_sgpr_count 13
		.amdhsa_user_sgpr_dispatch_ptr 0
		.amdhsa_user_sgpr_queue_ptr 0
		.amdhsa_user_sgpr_kernarg_segment_ptr 1
		.amdhsa_user_sgpr_dispatch_id 0
		.amdhsa_user_sgpr_private_segment_size 0
		.amdhsa_wavefront_size32 1
		.amdhsa_uses_dynamic_stack 0
		.amdhsa_enable_private_segment 0
		.amdhsa_system_sgpr_workgroup_id_x 1
		.amdhsa_system_sgpr_workgroup_id_y 1
		.amdhsa_system_sgpr_workgroup_id_z 1
		.amdhsa_system_sgpr_workgroup_info 0
		.amdhsa_system_vgpr_workitem_id 0
		.amdhsa_next_free_vgpr 93
		.amdhsa_next_free_sgpr 24
		.amdhsa_reserve_vcc 1
		.amdhsa_float_round_mode_32 0
		.amdhsa_float_round_mode_16_64 0
		.amdhsa_float_denorm_mode_32 3
		.amdhsa_float_denorm_mode_16_64 3
		.amdhsa_dx10_clamp 1
		.amdhsa_ieee_mode 1
		.amdhsa_fp16_overflow 0
		.amdhsa_workgroup_processor_mode 1
		.amdhsa_memory_ordered 1
		.amdhsa_forward_progress 0
		.amdhsa_shared_vgpr_count 0
		.amdhsa_exception_fp_ieee_invalid_op 0
		.amdhsa_exception_fp_denorm_src 0
		.amdhsa_exception_fp_ieee_div_zero 0
		.amdhsa_exception_fp_ieee_overflow 0
		.amdhsa_exception_fp_ieee_underflow 0
		.amdhsa_exception_fp_ieee_inexact 0
		.amdhsa_exception_int_div_zero 0
	.end_amdhsa_kernel
	.section	.text._ZN4vllm10gptq_rdna320gemm_q4_kernel_rdna3I6__halfLi4EEEvPKT_PKjS7_S5_PS3_iiiiiPKi,"axG",@progbits,_ZN4vllm10gptq_rdna320gemm_q4_kernel_rdna3I6__halfLi4EEEvPKT_PKjS7_S5_PS3_iiiiiPKi,comdat
.Lfunc_end2:
	.size	_ZN4vllm10gptq_rdna320gemm_q4_kernel_rdna3I6__halfLi4EEEvPKT_PKjS7_S5_PS3_iiiiiPKi, .Lfunc_end2-_ZN4vllm10gptq_rdna320gemm_q4_kernel_rdna3I6__halfLi4EEEvPKT_PKjS7_S5_PS3_iiiiiPKi
                                        ; -- End function
	.section	.AMDGPU.csdata,"",@progbits
; Kernel info:
; codeLenInByte = 6784
; NumSgprs: 26
; NumVgprs: 93
; ScratchSize: 0
; MemoryBound: 0
; FloatMode: 240
; IeeeMode: 1
; LDSByteSize: 2112 bytes/workgroup (compile time only)
; SGPRBlocks: 3
; VGPRBlocks: 11
; NumSGPRsForWavesPerEU: 26
; NumVGPRsForWavesPerEU: 93
; Occupancy: 16
; WaveLimiterHint : 0
; COMPUTE_PGM_RSRC2:SCRATCH_EN: 0
; COMPUTE_PGM_RSRC2:USER_SGPR: 13
; COMPUTE_PGM_RSRC2:TRAP_HANDLER: 0
; COMPUTE_PGM_RSRC2:TGID_X_EN: 1
; COMPUTE_PGM_RSRC2:TGID_Y_EN: 1
; COMPUTE_PGM_RSRC2:TGID_Z_EN: 1
; COMPUTE_PGM_RSRC2:TIDIG_COMP_CNT: 0
	.section	.text._ZN4vllm10gptq_rdna320gemm_q4_kernel_rdna3I6__halfLi8EEEvPKT_PKjS7_S5_PS3_iiiiiPKi,"axG",@progbits,_ZN4vllm10gptq_rdna320gemm_q4_kernel_rdna3I6__halfLi8EEEvPKT_PKjS7_S5_PS3_iiiiiPKi,comdat
	.protected	_ZN4vllm10gptq_rdna320gemm_q4_kernel_rdna3I6__halfLi8EEEvPKT_PKjS7_S5_PS3_iiiiiPKi ; -- Begin function _ZN4vllm10gptq_rdna320gemm_q4_kernel_rdna3I6__halfLi8EEEvPKT_PKjS7_S5_PS3_iiiiiPKi
	.globl	_ZN4vllm10gptq_rdna320gemm_q4_kernel_rdna3I6__halfLi8EEEvPKT_PKjS7_S5_PS3_iiiiiPKi
	.p2align	8
	.type	_ZN4vllm10gptq_rdna320gemm_q4_kernel_rdna3I6__halfLi8EEEvPKT_PKjS7_S5_PS3_iiiiiPKi,@function
_ZN4vllm10gptq_rdna320gemm_q4_kernel_rdna3I6__halfLi8EEEvPKT_PKjS7_S5_PS3_iiiiiPKi: ; @_ZN4vllm10gptq_rdna320gemm_q4_kernel_rdna3I6__halfLi8EEEvPKT_PKjS7_S5_PS3_iiiiiPKi
; %bb.0:
	s_clause 0x2
	s_load_b256 s[4:11], s[0:1], 0x18
	s_load_b128 s[16:19], s[0:1], 0x8
	s_load_b32 s20, s[0:1], 0x38
	s_lshl_b32 s15, s15, 8
	s_lshl_b32 s12, s14, 3
	v_add_nc_u32_e32 v1, s15, v0
	s_add_i32 s2, s15, 0x100
	s_waitcnt lgkmcnt(0)
	s_min_i32 s21, s2, s10
	s_mov_b32 s2, exec_lo
	v_cmpx_gt_i32_e64 s21, v1
	s_cbranch_execz .LBB3_34
; %bb.1:
	s_clause 0x1
	s_load_b64 s[22:23], s[0:1], 0x40
	s_load_b64 s[0:1], s[0:1], 0x0
	v_ashrrev_i32_e32 v2, 31, v1
	v_mov_b32_e32 v5, 0
	s_delay_alu instid0(VALU_DEP_2) | instskip(SKIP_2) | instid1(VALU_DEP_1)
	v_lshlrev_b64 v[3:4], 2, v[1:2]
	s_waitcnt lgkmcnt(0)
	s_cmp_lg_u64 s[22:23], 0
	v_add_co_u32 v3, vcc_lo, s22, v3
	s_cselect_b32 s3, -1, 0
	s_delay_alu instid0(VALU_DEP_2) | instskip(SKIP_2) | instid1(VALU_DEP_1)
	v_add_co_ci_u32_e32 v4, vcc_lo, s23, v4, vcc_lo
	v_cndmask_b32_e64 v7, 0, 1, s3
	s_cmp_ge_i32 s12, s8
	v_cmp_ne_u32_e32 vcc_lo, 1, v7
	s_cbranch_scc1 .LBB3_5
; %bb.2:
	v_dual_mov_b32 v6, v2 :: v_dual_mov_b32 v5, v1
	s_and_b32 vcc_lo, exec_lo, vcc_lo
	s_cbranch_vccnz .LBB3_4
; %bb.3:
	global_load_b32 v5, v[3:4], off
	s_waitcnt vmcnt(0)
	v_ashrrev_i32_e32 v6, 31, v5
.LBB3_4:
	s_mul_i32 s22, s12, s10
	s_delay_alu instid0(VALU_DEP_1) | instskip(SKIP_1) | instid1(SALU_CYCLE_1)
	v_lshlrev_b64 v[5:6], 1, v[5:6]
	s_ashr_i32 s23, s22, 31
	s_lshl_b64 s[22:23], s[22:23], 1
	s_delay_alu instid0(SALU_CYCLE_1) | instskip(SKIP_1) | instid1(VALU_DEP_1)
	s_add_u32 s14, s0, s22
	s_addc_u32 s22, s1, s23
	v_add_co_u32 v5, vcc_lo, s14, v5
	v_add_co_ci_u32_e32 v6, vcc_lo, s22, v6, vcc_lo
	global_load_u16 v5, v[5:6], off
.LBB3_5:
	v_lshlrev_b32_e32 v8, 1, v0
	v_mov_b32_e32 v6, 0
	s_or_b32 s14, s12, 1
	s_delay_alu instid0(SALU_CYCLE_1)
	s_cmp_ge_i32 s14, s8
	s_waitcnt vmcnt(0)
	ds_store_b16 v8, v5
	s_cbranch_scc1 .LBB3_9
; %bb.6:
	v_dual_mov_b32 v6, v2 :: v_dual_mov_b32 v5, v1
	s_and_not1_b32 vcc_lo, exec_lo, s3
	s_cbranch_vccnz .LBB3_8
; %bb.7:
	global_load_b32 v5, v[3:4], off
	s_waitcnt vmcnt(0)
	v_ashrrev_i32_e32 v6, 31, v5
.LBB3_8:
	s_mul_i32 s22, s14, s10
	s_delay_alu instid0(VALU_DEP_1) | instskip(SKIP_1) | instid1(SALU_CYCLE_1)
	v_lshlrev_b64 v[5:6], 1, v[5:6]
	s_ashr_i32 s23, s22, 31
	s_lshl_b64 s[22:23], s[22:23], 1
	s_delay_alu instid0(SALU_CYCLE_1) | instskip(SKIP_1) | instid1(VALU_DEP_1)
	s_add_u32 s3, s0, s22
	s_addc_u32 s14, s1, s23
	v_add_co_u32 v5, vcc_lo, s3, v5
	v_add_co_ci_u32_e32 v6, vcc_lo, s14, v6, vcc_lo
	global_load_u16 v6, v[5:6], off
.LBB3_9:
	v_mov_b32_e32 v5, 0
	s_or_b32 s3, s12, 2
	s_waitcnt vmcnt(0)
	ds_store_b16 v8, v6 offset:528
	s_cmp_ge_i32 s3, s8
	s_cbranch_scc1 .LBB3_13
; %bb.10:
	v_cmp_ne_u32_e32 vcc_lo, 1, v7
	v_dual_mov_b32 v6, v2 :: v_dual_mov_b32 v5, v1
	s_cbranch_vccnz .LBB3_12
; %bb.11:
	global_load_b32 v5, v[3:4], off
	s_waitcnt vmcnt(0)
	v_ashrrev_i32_e32 v6, 31, v5
.LBB3_12:
	s_mul_i32 s22, s3, s10
	s_delay_alu instid0(VALU_DEP_1) | instskip(SKIP_1) | instid1(SALU_CYCLE_1)
	v_lshlrev_b64 v[5:6], 1, v[5:6]
	s_ashr_i32 s23, s22, 31
	s_lshl_b64 s[22:23], s[22:23], 1
	s_delay_alu instid0(SALU_CYCLE_1) | instskip(SKIP_1) | instid1(VALU_DEP_1)
	s_add_u32 s3, s0, s22
	s_addc_u32 s14, s1, s23
	v_add_co_u32 v5, vcc_lo, s3, v5
	v_add_co_ci_u32_e32 v6, vcc_lo, s14, v6, vcc_lo
	global_load_u16 v5, v[5:6], off
.LBB3_13:
	v_mov_b32_e32 v6, 0
	s_or_b32 s3, s12, 3
	s_waitcnt vmcnt(0)
	ds_store_b16 v8, v5 offset:1056
	s_cmp_ge_i32 s3, s8
	s_cbranch_scc1 .LBB3_17
; %bb.14:
	v_cmp_ne_u32_e32 vcc_lo, 1, v7
	v_dual_mov_b32 v6, v2 :: v_dual_mov_b32 v5, v1
	s_cbranch_vccnz .LBB3_16
; %bb.15:
	global_load_b32 v5, v[3:4], off
	s_waitcnt vmcnt(0)
	v_ashrrev_i32_e32 v6, 31, v5
.LBB3_16:
	s_mul_i32 s22, s3, s10
	s_delay_alu instid0(VALU_DEP_1) | instskip(SKIP_1) | instid1(SALU_CYCLE_1)
	v_lshlrev_b64 v[5:6], 1, v[5:6]
	s_ashr_i32 s23, s22, 31
	s_lshl_b64 s[22:23], s[22:23], 1
	s_delay_alu instid0(SALU_CYCLE_1) | instskip(SKIP_1) | instid1(VALU_DEP_1)
	s_add_u32 s3, s0, s22
	s_addc_u32 s14, s1, s23
	v_add_co_u32 v5, vcc_lo, s3, v5
	v_add_co_ci_u32_e32 v6, vcc_lo, s14, v6, vcc_lo
	global_load_u16 v6, v[5:6], off
.LBB3_17:
	;; [unrolled: 27-line block ×5, first 2 shown]
	v_mov_b32_e32 v6, 0
	s_or_b32 s3, s12, 7
	s_waitcnt vmcnt(0)
	ds_store_b16 v8, v5 offset:3168
	s_cmp_ge_i32 s3, s8
	s_cbranch_scc1 .LBB3_33
; %bb.30:
	v_cmp_ne_u32_e32 vcc_lo, 1, v7
	s_cbranch_vccnz .LBB3_32
; %bb.31:
	global_load_b32 v1, v[3:4], off
	s_waitcnt vmcnt(0)
	v_ashrrev_i32_e32 v2, 31, v1
.LBB3_32:
	s_mul_i32 s22, s3, s10
	s_delay_alu instid0(VALU_DEP_1) | instskip(SKIP_1) | instid1(SALU_CYCLE_1)
	v_lshlrev_b64 v[1:2], 1, v[1:2]
	s_ashr_i32 s23, s22, 31
	s_lshl_b64 s[22:23], s[22:23], 1
	s_delay_alu instid0(SALU_CYCLE_1) | instskip(SKIP_1) | instid1(VALU_DEP_1)
	s_add_u32 s0, s0, s22
	s_addc_u32 s1, s1, s23
	v_add_co_u32 v1, vcc_lo, s0, v1
	v_add_co_ci_u32_e32 v2, vcc_lo, s1, v2, vcc_lo
	global_load_u16 v6, v[1:2], off
.LBB3_33:
	s_waitcnt vmcnt(0)
	ds_store_b16 v8, v6 offset:3696
.LBB3_34:
	s_or_b32 exec_lo, exec_lo, s2
	v_lshlrev_b32_e32 v1, 2, v0
	s_waitcnt lgkmcnt(0)
	s_barrier
	buffer_gl0_inv
	s_mov_b32 s0, exec_lo
	v_lshl_add_u32 v1, s13, 10, v1
	s_delay_alu instid0(VALU_DEP_1)
	v_cmpx_gt_i32_e64 s9, v1
	s_cbranch_execz .LBB3_71
; %bb.35:
	s_abs_i32 s0, s11
	v_ashrrev_i32_e32 v2, 31, v1
	v_cvt_f32_u32_e32 v3, s0
	v_dual_mov_b32 v76, 0 :: v_dual_mov_b32 v75, 0
	v_dual_mov_b32 v74, 0 :: v_dual_mov_b32 v71, 0
	s_delay_alu instid0(VALU_DEP_3)
	v_rcp_iflag_f32_e32 v3, v3
	v_mov_b32_e32 v66, 0
	v_lshlrev_b64 v[20:21], 1, v[1:2]
	v_dual_mov_b32 v78, 0 :: v_dual_mov_b32 v73, 0
	v_dual_mov_b32 v70, 0 :: v_dual_mov_b32 v67, 0
	;; [unrolled: 1-line block ×4, first 2 shown]
	s_delay_alu instid0(TRANS32_DEP_1) | instskip(SKIP_2) | instid1(VALU_DEP_3)
	v_dual_mul_f32 v3, 0x4f7ffffe, v3 :: v_dual_mov_b32 v62, 0
	v_dual_mov_b32 v65, 0 :: v_dual_mov_b32 v64, 0
	v_mov_b32_e32 v49, 0
	v_cvt_u32_f32_e32 v3, v3
	v_dual_mov_b32 v48, 0 :: v_dual_mov_b32 v47, 0
	v_dual_mov_b32 v46, 0 :: v_dual_mov_b32 v53, 0
	s_delay_alu instid0(VALU_DEP_3)
	v_readfirstlane_b32 s1, v3
	v_dual_mov_b32 v52, 0 :: v_dual_mov_b32 v51, 0
	v_dual_mov_b32 v50, 0 :: v_dual_mov_b32 v57, 0
	;; [unrolled: 1-line block ×5, first 2 shown]
	v_mov_b32_e32 v58, 0
	s_cmp_ge_i32 s15, s10
	s_mov_b32 s13, 0
	s_cbranch_scc1 .LBB3_40
; %bb.36:
	s_sub_i32 s2, 0, s0
	s_abs_i32 s3, s10
	s_mul_i32 s2, s2, s1
	v_lshrrev_b32_e32 v4, 29, v2
	s_mul_hi_u32 s2, s1, s2
	v_dual_mov_b32 v59, 0 :: v_dual_mov_b32 v60, 0
	s_add_i32 s1, s1, s2
	s_ashr_i32 s2, s10, 31
	s_mul_hi_u32 s1, s3, s1
	s_ashr_i32 s10, s11, 31
	s_mul_i32 s11, s1, s0
	s_xor_b32 s2, s2, s10
	s_sub_i32 s3, s3, s11
	s_add_i32 s10, s1, 1
	s_sub_i32 s11, s3, s0
	s_cmp_ge_u32 s3, s0
	v_dual_mov_b32 v61, 0 :: v_dual_mov_b32 v54, 0
	s_cselect_b32 s1, s10, s1
	s_cselect_b32 s3, s11, s3
	s_add_i32 s10, s1, 1
	s_cmp_ge_u32 s3, s0
	v_dual_mov_b32 v55, 0 :: v_dual_mov_b32 v56, 0
	s_cselect_b32 s0, s10, s1
	s_abs_i32 s14, s15
	s_xor_b32 s0, s0, s2
	s_ashr_i32 s1, s9, 31
	s_sub_i32 s10, s0, s2
	s_lshr_b32 s11, s1, 29
	s_abs_i32 s0, s10
	s_add_i32 s11, s9, s11
	v_cvt_f32_u32_e32 v3, s0
	s_sub_i32 s3, 0, s0
	s_ashr_i32 s11, s11, 3
	v_dual_mov_b32 v57, 0 :: v_dual_mov_b32 v50, 0
	s_delay_alu instid0(VALU_DEP_2)
	v_rcp_iflag_f32_e32 v3, v3
	v_dual_mov_b32 v51, 0 :: v_dual_mov_b32 v52, 0
	v_dual_mov_b32 v53, 0 :: v_dual_mov_b32 v46, 0
	v_dual_mov_b32 v47, 0 :: v_dual_mov_b32 v48, 0
	v_dual_mov_b32 v49, 0 :: v_dual_mov_b32 v64, 0
	v_dual_mov_b32 v65, 0 :: v_dual_mov_b32 v62, 0
	s_waitcnt_depctr 0xfff
	v_mul_f32_e32 v3, 0x4f7ffffe, v3
	v_dual_mov_b32 v63, 0 :: v_dual_mov_b32 v68, 0
	v_dual_mov_b32 v69, 0 :: v_dual_mov_b32 v66, 0
	s_delay_alu instid0(VALU_DEP_3) | instskip(SKIP_3) | instid1(VALU_DEP_4)
	v_cvt_u32_f32_e32 v3, v3
	v_dual_mov_b32 v58, 0 :: v_dual_mov_b32 v67, 0
	v_dual_mov_b32 v72, 0 :: v_dual_mov_b32 v73, 0
	v_mov_b32_e32 v70, 0
	v_readfirstlane_b32 s2, v3
	v_add_nc_u32_e32 v3, v1, v4
	v_dual_mov_b32 v71, 0 :: v_dual_mov_b32 v78, 0
	v_dual_mov_b32 v74, 0 :: v_dual_mov_b32 v75, 0
	s_delay_alu instid0(VALU_DEP_4) | instskip(NEXT) | instid1(VALU_DEP_3)
	s_mul_i32 s3, s3, s2
	v_ashrrev_i32_e32 v3, 3, v3
	s_mul_hi_u32 s3, s2, s3
	v_mov_b32_e32 v76, 0
	s_add_i32 s2, s2, s3
	s_xor_b32 s3, s15, s10
	s_mul_hi_u32 s2, s14, s2
	s_ashr_i32 s3, s3, 31
	s_mul_i32 s22, s2, s0
	v_ashrrev_i32_e32 v4, 31, v3
	s_sub_i32 s14, s14, s22
	s_add_i32 s22, s2, 1
	s_sub_i32 s23, s14, s0
	s_cmp_ge_u32 s14, s0
	v_lshlrev_b64 v[3:4], 2, v[3:4]
	s_cselect_b32 s2, s22, s2
	s_cselect_b32 s14, s23, s14
	s_add_i32 s22, s2, 1
	s_cmp_ge_u32 s14, s0
	s_cselect_b32 s0, s22, s2
	s_delay_alu instid0(SALU_CYCLE_1) | instskip(NEXT) | instid1(SALU_CYCLE_1)
	s_xor_b32 s0, s0, s3
	s_sub_i32 s14, s0, s3
	s_delay_alu instid0(SALU_CYCLE_1) | instskip(SKIP_2) | instid1(SALU_CYCLE_1)
	s_mul_i32 s2, s14, s9
	s_mul_i32 s22, s14, s11
	s_ashr_i32 s3, s2, 31
	s_lshl_b64 s[2:3], s[2:3], 1
	s_delay_alu instid0(SALU_CYCLE_1)
	s_add_u32 s0, s4, s2
	s_addc_u32 s2, s5, s3
	s_ashr_i32 s23, s22, 31
	v_add_co_u32 v5, vcc_lo, s0, v20
	v_add_co_ci_u32_e32 v6, vcc_lo, s2, v21, vcc_lo
	s_lshl_b64 s[2:3], s[22:23], 2
	s_delay_alu instid0(SALU_CYCLE_1)
	s_add_u32 s0, s18, s2
	s_addc_u32 s2, s19, s3
	v_add_co_u32 v7, vcc_lo, s0, v3
	v_add_co_ci_u32_e32 v8, vcc_lo, s2, v4, vcc_lo
	global_load_b64 v[5:6], v[5:6], off
	v_add_co_u32 v24, vcc_lo, s4, v20
	global_load_b32 v7, v[7:8], off
	v_lshlrev_b32_e32 v8, 4, v0
	v_lshlrev_b64 v[0:1], 2, v[1:2]
	v_add_co_ci_u32_e32 v25, vcc_lo, s5, v21, vcc_lo
	v_add_co_u32 v27, vcc_lo, s18, v3
	s_delay_alu instid0(VALU_DEP_4) | instskip(SKIP_4) | instid1(SALU_CYCLE_1)
	v_and_b32_e32 v26, 16, v8
	v_add_co_ci_u32_e32 v28, vcc_lo, s19, v4, vcc_lo
	s_ashr_i32 s2, s15, 3
	s_mov_b32 s0, s9
	s_mul_i32 s2, s2, s9
	s_ashr_i32 s3, s2, 31
	s_delay_alu instid0(SALU_CYCLE_1) | instskip(NEXT) | instid1(SALU_CYCLE_1)
	s_lshl_b64 s[2:3], s[2:3], 2
	s_add_u32 s4, s16, s2
	s_addc_u32 s3, s17, s3
	s_lshl_b64 s[0:1], s[0:1], 2
	v_add_co_u32 v22, vcc_lo, s4, v0
	v_add_co_ci_u32_e32 v23, vcc_lo, s3, v1, vcc_lo
	s_lshl_b32 s2, s9, 2
	s_add_i32 s5, s14, 1
	s_ashr_i32 s3, s2, 31
	s_mul_i32 s4, s5, s10
	s_lshl_b64 s[2:3], s[2:3], 2
	s_mov_b32 s5, 0xf000f
	s_mov_b32 s16, 0xf000f0
	s_waitcnt vmcnt(1)
	v_alignbit_b32 v0, s0, v6, 16
	v_alignbit_b32 v1, s0, v5, 16
	v_perm_b32 v35, v6, v6, 0x7060302
	s_waitcnt vmcnt(0)
	v_lshrrev_b32_e32 v2, v8, v7
	v_bfe_u32 v3, v7, v26, 4
	v_pk_mul_f16 v36, 0x2c00, v6 op_sel:[0,1] op_sel_hi:[0,1]
	v_perm_b32 v33, v6, v6, 0x5040100
	v_pk_mul_f16 v34, 0x2c00, v6 op_sel_hi:[0,0]
	v_bfe_u32 v4, v2, 12, 4
	v_bfe_u32 v7, v2, 8, 4
	;; [unrolled: 1-line block ×3, first 2 shown]
	v_add_nc_u32_e32 v3, s20, v3
	v_perm_b32 v30, v5, v5, 0x7060302
	v_add_nc_u32_e32 v4, s20, v4
	v_add_nc_u32_e32 v7, s20, v7
	;; [unrolled: 1-line block ×3, first 2 shown]
	v_or_b32_e32 v8, 0xffffe400, v3
	v_cvt_f32_i32_e32 v3, v3
	v_or_b32_e32 v9, 0xffffe400, v4
	v_or_b32_e32 v10, 0xffffe400, v7
	;; [unrolled: 1-line block ×3, first 2 shown]
	v_cvt_f32_i32_e32 v4, v4
	v_cvt_f32_i32_e32 v7, v7
	;; [unrolled: 1-line block ×3, first 2 shown]
	v_cvt_f16_f32_e32 v3, v3
	v_pk_mul_f16 v8, v5, v8
	v_cvt_f16_f32_e32 v4, v4
	v_cvt_f16_f32_e32 v7, v7
	;; [unrolled: 1-line block ×3, first 2 shown]
	v_sub_f16_e32 v3, 0xd400, v3
	v_pk_mul_f16 v9, v0, v9
	v_sub_f16_e32 v4, 0xd400, v4
	v_sub_f16_e32 v7, 0xd400, v7
	;; [unrolled: 1-line block ×3, first 2 shown]
	v_pk_mul_f16 v10, v6, v10
	v_pk_mul_f16 v11, v1, v11
	;; [unrolled: 1-line block ×6, first 2 shown]
	v_pk_mul_f16 v32, 0x2c00, v5 op_sel:[0,1] op_sel_hi:[0,1]
	v_perm_b32 v29, v5, v5, 0x5040100
	v_pk_mul_f16 v31, 0x2c00, v5 op_sel_hi:[0,0]
	v_pack_b32_f16 v37, v8, v8
	v_pack_b32_f16 v39, v9, v9
	;; [unrolled: 1-line block ×8, first 2 shown]
	s_branch .LBB3_38
.LBB3_37:                               ;   in Loop: Header=BB3_38 Depth=1
	global_load_b128 v[4:7], v[22:23], off
	v_add_co_u32 v0, vcc_lo, v22, s0
	v_add_co_ci_u32_e32 v1, vcc_lo, s1, v23, vcc_lo
	v_mov_b32_e32 v45, s13
	v_mov_b32_e32 v77, 0
	s_add_i32 s15, s15, 32
	global_load_b128 v[16:19], v[0:1], off
	v_add_co_u32 v0, vcc_lo, v0, s0
	v_add_co_ci_u32_e32 v1, vcc_lo, s1, v1, vcc_lo
	s_add_i32 s13, s13, 64
	s_cmp_ge_i32 s15, s21
	global_load_b128 v[8:11], v[0:1], off
	v_add_co_u32 v0, vcc_lo, v0, s0
	v_add_co_ci_u32_e32 v1, vcc_lo, s1, v1, vcc_lo
	v_add_co_u32 v22, vcc_lo, v22, s2
	v_add_co_ci_u32_e32 v23, vcc_lo, s3, v23, vcc_lo
	global_load_b128 v[0:3], v[0:1], off
	s_waitcnt vmcnt(3)
	v_and_or_b32 v12, v4, s5, 0x64006400
	v_and_or_b32 v13, v4, s16, 0x64006400
	v_lshrrev_b32_e32 v4, 8, v4
	s_delay_alu instid0(VALU_DEP_3) | instskip(SKIP_1) | instid1(VALU_DEP_3)
	v_pk_fma_f16 v102, v12, v29, v37
	v_and_or_b32 v12, v5, s16, 0x64006400
	v_and_or_b32 v14, v4, s5, 0x64006400
	v_and_or_b32 v4, v4, s16, 0x64006400
	v_pk_fma_f16 v103, v13, v31, v41
	s_delay_alu instid0(VALU_DEP_4) | instskip(NEXT) | instid1(VALU_DEP_4)
	v_pk_fma_f16 v107, v12, v32, v42
	v_pk_fma_f16 v104, v14, v29, v37
	s_delay_alu instid0(VALU_DEP_4) | instskip(SKIP_2) | instid1(VALU_DEP_2)
	v_pk_fma_f16 v105, v4, v31, v41
	v_and_or_b32 v4, v5, s5, 0x64006400
	v_lshrrev_b32_e32 v5, 8, v5
	v_pk_fma_f16 v106, v4, v30, v40
	s_delay_alu instid0(VALU_DEP_2) | instskip(SKIP_2) | instid1(VALU_DEP_3)
	v_and_or_b32 v13, v5, s5, 0x64006400
	v_and_or_b32 v5, v5, s16, 0x64006400
	;; [unrolled: 1-line block ×3, first 2 shown]
	v_pk_fma_f16 v108, v13, v30, v40
	s_delay_alu instid0(VALU_DEP_3) | instskip(SKIP_4) | instid1(VALU_DEP_4)
	v_pk_fma_f16 v109, v5, v32, v42
	v_and_or_b32 v5, v6, s16, 0x64006400
	v_lshrrev_b32_e32 v6, 8, v6
	v_pk_fma_f16 v110, v4, v33, v38
	v_and_or_b32 v4, v7, s5, 0x64006400
	v_pk_fma_f16 v111, v5, v34, v43
	s_delay_alu instid0(VALU_DEP_4) | instskip(SKIP_3) | instid1(VALU_DEP_4)
	v_and_or_b32 v12, v6, s5, 0x64006400
	v_and_or_b32 v6, v6, s16, 0x64006400
	v_and_or_b32 v5, v7, s16, 0x64006400
	v_pk_fma_f16 v118, v4, v35, v39
	v_pk_fma_f16 v112, v12, v33, v38
	s_delay_alu instid0(VALU_DEP_4) | instskip(SKIP_2) | instid1(VALU_DEP_2)
	v_pk_fma_f16 v113, v6, v34, v43
	v_lshrrev_b32_e32 v6, 8, v7
	v_pk_fma_f16 v119, v5, v36, v44
	v_and_or_b32 v7, v6, s5, 0x64006400
	v_and_or_b32 v6, v6, s16, 0x64006400
	s_delay_alu instid0(VALU_DEP_2) | instskip(NEXT) | instid1(VALU_DEP_2)
	v_pk_fma_f16 v120, v7, v35, v39
	v_pk_fma_f16 v121, v6, v36, v44
	ds_load_b128 v[79:82], v45
	ds_load_b128 v[114:117], v45 offset:16
	ds_load_b128 v[12:15], v45 offset:32
	;; [unrolled: 1-line block ×3, first 2 shown]
	s_waitcnt lgkmcnt(3)
	v_dot2acc_f32_f16 v77, v102, v79
	s_delay_alu instid0(VALU_DEP_1) | instskip(NEXT) | instid1(VALU_DEP_1)
	v_dot2acc_f32_f16 v77, v103, v80
	v_dot2acc_f32_f16 v77, v104, v81
	s_delay_alu instid0(VALU_DEP_1) | instskip(NEXT) | instid1(VALU_DEP_1)
	v_dot2acc_f32_f16 v77, v105, v82
	v_dual_add_f32 v122, v49, v77 :: v_dual_mov_b32 v49, 0
	v_mov_b32_e32 v77, 0
	s_delay_alu instid0(VALU_DEP_2) | instskip(NEXT) | instid1(VALU_DEP_1)
	v_dot2acc_f32_f16 v49, v106, v79
	v_dot2acc_f32_f16 v49, v107, v80
	s_delay_alu instid0(VALU_DEP_1) | instskip(NEXT) | instid1(VALU_DEP_1)
	v_dot2acc_f32_f16 v49, v108, v81
	v_dot2acc_f32_f16 v49, v109, v82
	s_delay_alu instid0(VALU_DEP_1) | instskip(NEXT) | instid1(VALU_DEP_1)
	v_dual_add_f32 v123, v49, v48 :: v_dual_mov_b32 v48, 0
	v_dot2acc_f32_f16 v48, v110, v79
	s_delay_alu instid0(VALU_DEP_1) | instskip(NEXT) | instid1(VALU_DEP_1)
	v_dot2acc_f32_f16 v48, v111, v80
	v_dot2acc_f32_f16 v48, v112, v81
	s_delay_alu instid0(VALU_DEP_1) | instskip(NEXT) | instid1(VALU_DEP_1)
	v_dot2acc_f32_f16 v48, v113, v82
	v_dual_add_f32 v124, v48, v47 :: v_dual_mov_b32 v47, 0
	s_delay_alu instid0(VALU_DEP_1) | instskip(NEXT) | instid1(VALU_DEP_1)
	v_dot2acc_f32_f16 v47, v118, v79
	v_dot2acc_f32_f16 v47, v119, v80
	s_delay_alu instid0(VALU_DEP_1) | instskip(NEXT) | instid1(VALU_DEP_1)
	v_dot2acc_f32_f16 v47, v120, v81
	v_dot2acc_f32_f16 v47, v121, v82
	s_delay_alu instid0(VALU_DEP_1) | instskip(SKIP_3) | instid1(VALU_DEP_1)
	v_add_f32_e32 v125, v47, v46
	ds_load_b128 v[46:49], v45 offset:528
	s_waitcnt lgkmcnt(0)
	v_dot2acc_f32_f16 v77, v102, v46
	v_dot2acc_f32_f16 v77, v103, v47
	s_delay_alu instid0(VALU_DEP_1) | instskip(NEXT) | instid1(VALU_DEP_1)
	v_dot2acc_f32_f16 v77, v104, v48
	v_dot2acc_f32_f16 v77, v105, v49
	s_delay_alu instid0(VALU_DEP_1) | instskip(NEXT) | instid1(VALU_DEP_1)
	v_dual_add_f32 v98, v53, v77 :: v_dual_mov_b32 v53, 0
	v_dot2acc_f32_f16 v53, v106, v46
	s_delay_alu instid0(VALU_DEP_1) | instskip(NEXT) | instid1(VALU_DEP_1)
	v_dot2acc_f32_f16 v53, v107, v47
	v_dot2acc_f32_f16 v53, v108, v48
	s_delay_alu instid0(VALU_DEP_1) | instskip(NEXT) | instid1(VALU_DEP_1)
	v_dot2acc_f32_f16 v53, v109, v49
	v_dual_add_f32 v99, v53, v52 :: v_dual_mov_b32 v52, 0
	s_delay_alu instid0(VALU_DEP_1) | instskip(NEXT) | instid1(VALU_DEP_1)
	v_dot2acc_f32_f16 v52, v110, v46
	v_dot2acc_f32_f16 v52, v111, v47
	s_delay_alu instid0(VALU_DEP_1) | instskip(NEXT) | instid1(VALU_DEP_1)
	v_dot2acc_f32_f16 v52, v112, v48
	v_dot2acc_f32_f16 v52, v113, v49
	s_delay_alu instid0(VALU_DEP_1) | instskip(NEXT) | instid1(VALU_DEP_1)
	v_dual_add_f32 v100, v52, v51 :: v_dual_mov_b32 v51, 0
	v_dot2acc_f32_f16 v51, v118, v46
	s_delay_alu instid0(VALU_DEP_1) | instskip(NEXT) | instid1(VALU_DEP_1)
	v_dot2acc_f32_f16 v51, v119, v47
	v_dot2acc_f32_f16 v51, v120, v48
	s_delay_alu instid0(VALU_DEP_1) | instskip(SKIP_3) | instid1(VALU_DEP_1)
	v_dot2acc_f32_f16 v51, v121, v49
	ds_load_b128 v[46:49], v45 offset:1056
	v_dual_add_f32 v101, v51, v50 :: v_dual_mov_b32 v50, 0
	s_waitcnt lgkmcnt(0)
	v_dot2acc_f32_f16 v50, v102, v46
	s_delay_alu instid0(VALU_DEP_1) | instskip(NEXT) | instid1(VALU_DEP_1)
	v_dot2acc_f32_f16 v50, v103, v47
	v_dot2acc_f32_f16 v50, v104, v48
	s_delay_alu instid0(VALU_DEP_1) | instskip(NEXT) | instid1(VALU_DEP_1)
	v_dot2acc_f32_f16 v50, v105, v49
	v_dual_add_f32 v77, v57, v50 :: v_dual_mov_b32 v50, 0
	s_delay_alu instid0(VALU_DEP_1) | instskip(NEXT) | instid1(VALU_DEP_1)
	v_dot2acc_f32_f16 v50, v106, v46
	v_dot2acc_f32_f16 v50, v107, v47
	s_delay_alu instid0(VALU_DEP_1) | instskip(NEXT) | instid1(VALU_DEP_1)
	v_dot2acc_f32_f16 v50, v108, v48
	v_dot2acc_f32_f16 v50, v109, v49
	s_delay_alu instid0(VALU_DEP_1) | instskip(NEXT) | instid1(VALU_DEP_1)
	v_dual_add_f32 v95, v50, v56 :: v_dual_mov_b32 v50, 0
	v_dot2acc_f32_f16 v50, v110, v46
	s_delay_alu instid0(VALU_DEP_1) | instskip(NEXT) | instid1(VALU_DEP_1)
	v_dot2acc_f32_f16 v50, v111, v47
	v_dot2acc_f32_f16 v50, v112, v48
	s_delay_alu instid0(VALU_DEP_1) | instskip(NEXT) | instid1(VALU_DEP_1)
	v_dot2acc_f32_f16 v50, v113, v49
	v_add_f32_e32 v96, v50, v55
	v_mov_b32_e32 v50, 0
	s_delay_alu instid0(VALU_DEP_1) | instskip(NEXT) | instid1(VALU_DEP_1)
	v_dot2acc_f32_f16 v50, v118, v46
	v_dot2acc_f32_f16 v50, v119, v47
	s_delay_alu instid0(VALU_DEP_1) | instskip(NEXT) | instid1(VALU_DEP_1)
	v_dot2acc_f32_f16 v50, v120, v48
	v_dot2acc_f32_f16 v50, v121, v49
	ds_load_b128 v[46:49], v45 offset:1584
	v_dual_add_f32 v97, v50, v54 :: v_dual_mov_b32 v50, 0
	s_waitcnt lgkmcnt(0)
	s_delay_alu instid0(VALU_DEP_1) | instskip(NEXT) | instid1(VALU_DEP_1)
	v_dot2acc_f32_f16 v50, v102, v46
	v_dot2acc_f32_f16 v50, v103, v47
	s_delay_alu instid0(VALU_DEP_1) | instskip(NEXT) | instid1(VALU_DEP_1)
	v_dot2acc_f32_f16 v50, v104, v48
	v_dot2acc_f32_f16 v50, v105, v49
	s_delay_alu instid0(VALU_DEP_1) | instskip(NEXT) | instid1(VALU_DEP_1)
	v_dual_add_f32 v87, v61, v50 :: v_dual_mov_b32 v50, 0
	v_dot2acc_f32_f16 v50, v106, v46
	s_delay_alu instid0(VALU_DEP_1) | instskip(NEXT) | instid1(VALU_DEP_1)
	v_dot2acc_f32_f16 v50, v107, v47
	v_dot2acc_f32_f16 v50, v108, v48
	s_delay_alu instid0(VALU_DEP_1) | instskip(NEXT) | instid1(VALU_DEP_1)
	v_dot2acc_f32_f16 v50, v109, v49
	v_add_f32_e32 v88, v50, v60
	v_mov_b32_e32 v50, 0
	s_delay_alu instid0(VALU_DEP_1) | instskip(NEXT) | instid1(VALU_DEP_1)
	v_dot2acc_f32_f16 v50, v110, v46
	v_dot2acc_f32_f16 v50, v111, v47
	s_delay_alu instid0(VALU_DEP_1) | instskip(NEXT) | instid1(VALU_DEP_1)
	v_dot2acc_f32_f16 v50, v112, v48
	v_dot2acc_f32_f16 v50, v113, v49
	s_delay_alu instid0(VALU_DEP_1) | instskip(NEXT) | instid1(VALU_DEP_1)
	v_dual_add_f32 v89, v50, v59 :: v_dual_mov_b32 v50, 0
	v_dot2acc_f32_f16 v50, v118, v46
	s_delay_alu instid0(VALU_DEP_1) | instskip(NEXT) | instid1(VALU_DEP_1)
	v_dot2acc_f32_f16 v50, v119, v47
	v_dot2acc_f32_f16 v50, v120, v48
	s_delay_alu instid0(VALU_DEP_1) | instskip(SKIP_4) | instid1(VALU_DEP_1)
	v_dot2acc_f32_f16 v50, v121, v49
	ds_load_b128 v[46:49], v45 offset:2112
	v_add_f32_e32 v94, v50, v58
	v_mov_b32_e32 v50, 0
	s_waitcnt lgkmcnt(0)
	v_dot2acc_f32_f16 v50, v102, v46
	s_delay_alu instid0(VALU_DEP_1) | instskip(NEXT) | instid1(VALU_DEP_1)
	v_dot2acc_f32_f16 v50, v103, v47
	v_dot2acc_f32_f16 v50, v104, v48
	s_delay_alu instid0(VALU_DEP_1) | instskip(NEXT) | instid1(VALU_DEP_1)
	v_dot2acc_f32_f16 v50, v105, v49
	v_add_f32_e32 v90, v65, v50
	v_mov_b32_e32 v50, 0
	s_delay_alu instid0(VALU_DEP_1) | instskip(NEXT) | instid1(VALU_DEP_1)
	v_dot2acc_f32_f16 v50, v106, v46
	v_dot2acc_f32_f16 v50, v107, v47
	s_delay_alu instid0(VALU_DEP_1) | instskip(NEXT) | instid1(VALU_DEP_1)
	v_dot2acc_f32_f16 v50, v108, v48
	v_dot2acc_f32_f16 v50, v109, v49
	s_delay_alu instid0(VALU_DEP_1) | instskip(NEXT) | instid1(VALU_DEP_1)
	v_dual_add_f32 v91, v50, v64 :: v_dual_mov_b32 v50, 0
	v_dot2acc_f32_f16 v50, v110, v46
	s_delay_alu instid0(VALU_DEP_1) | instskip(NEXT) | instid1(VALU_DEP_1)
	v_dot2acc_f32_f16 v50, v111, v47
	v_dot2acc_f32_f16 v50, v112, v48
	s_delay_alu instid0(VALU_DEP_1) | instskip(NEXT) | instid1(VALU_DEP_1)
	v_dot2acc_f32_f16 v50, v113, v49
	v_add_f32_e32 v92, v50, v63
	v_mov_b32_e32 v50, 0
	s_delay_alu instid0(VALU_DEP_1) | instskip(NEXT) | instid1(VALU_DEP_1)
	v_dot2acc_f32_f16 v50, v118, v46
	v_dot2acc_f32_f16 v50, v119, v47
	s_delay_alu instid0(VALU_DEP_1) | instskip(NEXT) | instid1(VALU_DEP_1)
	v_dot2acc_f32_f16 v50, v120, v48
	v_dot2acc_f32_f16 v50, v121, v49
	ds_load_b128 v[46:49], v45 offset:2640
	v_dual_add_f32 v93, v50, v62 :: v_dual_mov_b32 v50, 0
	s_waitcnt lgkmcnt(0)
	s_delay_alu instid0(VALU_DEP_1) | instskip(NEXT) | instid1(VALU_DEP_1)
	v_dot2acc_f32_f16 v50, v102, v46
	v_dot2acc_f32_f16 v50, v103, v47
	s_delay_alu instid0(VALU_DEP_1) | instskip(NEXT) | instid1(VALU_DEP_1)
	v_dot2acc_f32_f16 v50, v104, v48
	v_dot2acc_f32_f16 v50, v105, v49
	s_delay_alu instid0(VALU_DEP_1) | instskip(NEXT) | instid1(VALU_DEP_1)
	v_dual_add_f32 v83, v69, v50 :: v_dual_mov_b32 v50, 0
	v_dot2acc_f32_f16 v50, v106, v46
	s_delay_alu instid0(VALU_DEP_1) | instskip(NEXT) | instid1(VALU_DEP_1)
	v_dot2acc_f32_f16 v50, v107, v47
	v_dot2acc_f32_f16 v50, v108, v48
	s_delay_alu instid0(VALU_DEP_1) | instskip(NEXT) | instid1(VALU_DEP_1)
	v_dot2acc_f32_f16 v50, v109, v49
	v_add_f32_e32 v84, v50, v68
	v_mov_b32_e32 v50, 0
	s_delay_alu instid0(VALU_DEP_1) | instskip(NEXT) | instid1(VALU_DEP_1)
	v_dot2acc_f32_f16 v50, v110, v46
	v_dot2acc_f32_f16 v50, v111, v47
	s_delay_alu instid0(VALU_DEP_1) | instskip(NEXT) | instid1(VALU_DEP_1)
	v_dot2acc_f32_f16 v50, v112, v48
	v_dot2acc_f32_f16 v50, v113, v49
	s_delay_alu instid0(VALU_DEP_1) | instskip(NEXT) | instid1(VALU_DEP_1)
	v_dual_add_f32 v85, v50, v67 :: v_dual_mov_b32 v50, 0
	v_dot2acc_f32_f16 v50, v118, v46
	s_delay_alu instid0(VALU_DEP_1) | instskip(NEXT) | instid1(VALU_DEP_1)
	v_dot2acc_f32_f16 v50, v119, v47
	v_dot2acc_f32_f16 v50, v120, v48
	s_delay_alu instid0(VALU_DEP_1) | instskip(SKIP_4) | instid1(VALU_DEP_1)
	v_dot2acc_f32_f16 v50, v121, v49
	ds_load_b128 v[46:49], v45 offset:3168
	v_add_f32_e32 v86, v50, v66
	v_mov_b32_e32 v50, 0
	s_waitcnt lgkmcnt(0)
	v_dot2acc_f32_f16 v50, v102, v46
	s_delay_alu instid0(VALU_DEP_1) | instskip(NEXT) | instid1(VALU_DEP_1)
	v_dot2acc_f32_f16 v50, v103, v47
	v_dot2acc_f32_f16 v50, v104, v48
	s_delay_alu instid0(VALU_DEP_1) | instskip(NEXT) | instid1(VALU_DEP_1)
	v_dot2acc_f32_f16 v50, v105, v49
	v_dual_add_f32 v79, v73, v50 :: v_dual_mov_b32 v50, 0
	s_delay_alu instid0(VALU_DEP_1) | instskip(NEXT) | instid1(VALU_DEP_1)
	v_dual_mov_b32 v73, 0 :: v_dual_dot2acc_f32_f16 v50, v106, v46
	v_dot2acc_f32_f16 v50, v107, v47
	s_delay_alu instid0(VALU_DEP_1) | instskip(NEXT) | instid1(VALU_DEP_1)
	v_dot2acc_f32_f16 v50, v108, v48
	v_dot2acc_f32_f16 v50, v109, v49
	s_delay_alu instid0(VALU_DEP_1) | instskip(SKIP_2) | instid1(VALU_DEP_2)
	v_add_f32_e32 v80, v50, v72
	v_mov_b32_e32 v50, 0
	v_mov_b32_e32 v72, 0
	v_dot2acc_f32_f16 v50, v110, v46
	s_delay_alu instid0(VALU_DEP_1) | instskip(NEXT) | instid1(VALU_DEP_1)
	v_dot2acc_f32_f16 v50, v111, v47
	v_dot2acc_f32_f16 v50, v112, v48
	s_delay_alu instid0(VALU_DEP_1) | instskip(NEXT) | instid1(VALU_DEP_1)
	v_dot2acc_f32_f16 v50, v113, v49
	v_dual_add_f32 v81, v50, v71 :: v_dual_mov_b32 v50, 0
	s_delay_alu instid0(VALU_DEP_1) | instskip(NEXT) | instid1(VALU_DEP_1)
	v_dual_mov_b32 v71, 0 :: v_dual_dot2acc_f32_f16 v50, v118, v46
	v_dot2acc_f32_f16 v50, v119, v47
	s_delay_alu instid0(VALU_DEP_1) | instskip(NEXT) | instid1(VALU_DEP_1)
	v_dot2acc_f32_f16 v50, v120, v48
	v_dot2acc_f32_f16 v50, v121, v49
	ds_load_b128 v[46:49], v45 offset:3696
	v_add_f32_e32 v82, v50, v70
	v_mov_b32_e32 v50, 0
	v_mov_b32_e32 v70, 0
	s_waitcnt lgkmcnt(0)
	s_delay_alu instid0(VALU_DEP_2) | instskip(NEXT) | instid1(VALU_DEP_1)
	v_dot2acc_f32_f16 v50, v102, v46
	v_dot2acc_f32_f16 v50, v103, v47
	s_delay_alu instid0(VALU_DEP_1) | instskip(NEXT) | instid1(VALU_DEP_1)
	v_dot2acc_f32_f16 v50, v104, v48
	v_dot2acc_f32_f16 v50, v105, v49
	s_delay_alu instid0(VALU_DEP_1) | instskip(SKIP_1) | instid1(VALU_DEP_2)
	v_dual_add_f32 v57, v78, v50 :: v_dual_mov_b32 v50, 0
	v_mov_b32_e32 v78, 0
	v_dot2acc_f32_f16 v50, v106, v46
	s_delay_alu instid0(VALU_DEP_1) | instskip(NEXT) | instid1(VALU_DEP_1)
	v_dot2acc_f32_f16 v50, v107, v47
	v_dot2acc_f32_f16 v50, v108, v48
	s_delay_alu instid0(VALU_DEP_1) | instskip(NEXT) | instid1(VALU_DEP_1)
	v_dot2acc_f32_f16 v50, v109, v49
	v_dual_add_f32 v55, v50, v74 :: v_dual_mov_b32 v50, 0
	v_mov_b32_e32 v74, 0
	s_delay_alu instid0(VALU_DEP_2) | instskip(NEXT) | instid1(VALU_DEP_1)
	v_dot2acc_f32_f16 v50, v110, v46
	v_dot2acc_f32_f16 v50, v111, v47
	s_delay_alu instid0(VALU_DEP_1) | instskip(NEXT) | instid1(VALU_DEP_1)
	v_dot2acc_f32_f16 v50, v112, v48
	v_dot2acc_f32_f16 v50, v113, v49
	s_delay_alu instid0(VALU_DEP_1) | instskip(SKIP_1) | instid1(VALU_DEP_1)
	v_add_f32_e32 v52, v50, v75
	v_dual_mov_b32 v50, 0 :: v_dual_mov_b32 v75, 0
	v_dot2acc_f32_f16 v50, v118, v46
	s_waitcnt vmcnt(2)
	v_and_or_b32 v46, v16, s5, 0x64006400
	s_delay_alu instid0(VALU_DEP_2) | instskip(SKIP_2) | instid1(VALU_DEP_4)
	v_dot2acc_f32_f16 v50, v119, v47
	v_and_or_b32 v47, v16, s16, 0x64006400
	v_lshrrev_b32_e32 v16, 8, v16
	v_pk_fma_f16 v66, v46, v29, v37
	v_and_or_b32 v46, v17, s16, 0x64006400
	v_dot2acc_f32_f16 v50, v120, v48
	v_pk_fma_f16 v67, v47, v31, v41
	v_and_or_b32 v48, v16, s5, 0x64006400
	v_and_or_b32 v16, v16, s16, 0x64006400
	v_pk_fma_f16 v63, v46, v32, v42
	v_dot2acc_f32_f16 v50, v121, v49
	s_delay_alu instid0(VALU_DEP_4) | instskip(NEXT) | instid1(VALU_DEP_4)
	v_pk_fma_f16 v68, v48, v29, v37
	v_pk_fma_f16 v69, v16, v31, v41
	v_and_or_b32 v16, v17, s5, 0x64006400
	v_lshrrev_b32_e32 v17, 8, v17
	v_add_f32_e32 v50, v50, v76
	v_mov_b32_e32 v76, 0
	s_delay_alu instid0(VALU_DEP_4) | instskip(SKIP_3) | instid1(VALU_DEP_3)
	v_pk_fma_f16 v62, v16, v30, v40
	v_and_or_b32 v16, v18, s5, 0x64006400
	v_and_or_b32 v47, v17, s5, 0x64006400
	;; [unrolled: 1-line block ×3, first 2 shown]
	v_pk_fma_f16 v58, v16, v33, v38
	v_and_or_b32 v16, v19, s5, 0x64006400
	s_delay_alu instid0(VALU_DEP_4) | instskip(NEXT) | instid1(VALU_DEP_4)
	v_pk_fma_f16 v64, v47, v30, v40
	v_pk_fma_f16 v65, v17, v32, v42
	v_and_or_b32 v17, v18, s16, 0x64006400
	v_lshrrev_b32_e32 v18, 8, v18
	v_pk_fma_f16 v56, v16, v35, v39
	v_mov_b32_e32 v16, 0
	s_delay_alu instid0(VALU_DEP_4) | instskip(NEXT) | instid1(VALU_DEP_4)
	v_pk_fma_f16 v59, v17, v34, v43
	v_and_or_b32 v46, v18, s5, 0x64006400
	v_and_or_b32 v18, v18, s16, 0x64006400
	s_delay_alu instid0(VALU_DEP_4) | instskip(SKIP_1) | instid1(VALU_DEP_4)
	v_dot2acc_f32_f16 v16, v66, v114
	v_and_or_b32 v17, v19, s16, 0x64006400
	v_pk_fma_f16 v60, v46, v33, v38
	s_delay_alu instid0(VALU_DEP_4) | instskip(NEXT) | instid1(VALU_DEP_4)
	v_pk_fma_f16 v61, v18, v34, v43
	v_dot2acc_f32_f16 v16, v67, v115
	v_lshrrev_b32_e32 v18, 8, v19
	v_pk_fma_f16 v54, v17, v36, v44
	s_delay_alu instid0(VALU_DEP_3) | instskip(NEXT) | instid1(VALU_DEP_3)
	v_dot2acc_f32_f16 v16, v68, v116
	v_and_or_b32 v19, v18, s5, 0x64006400
	v_and_or_b32 v18, v18, s16, 0x64006400
	s_delay_alu instid0(VALU_DEP_3) | instskip(NEXT) | instid1(VALU_DEP_3)
	v_dot2acc_f32_f16 v16, v69, v117
	v_pk_fma_f16 v53, v19, v35, v39
	s_delay_alu instid0(VALU_DEP_3) | instskip(NEXT) | instid1(VALU_DEP_3)
	v_pk_fma_f16 v51, v18, v36, v44
	v_dual_add_f32 v49, v122, v16 :: v_dual_mov_b32 v16, 0
	s_delay_alu instid0(VALU_DEP_1) | instskip(NEXT) | instid1(VALU_DEP_1)
	v_dot2acc_f32_f16 v16, v62, v114
	v_dot2acc_f32_f16 v16, v63, v115
	s_delay_alu instid0(VALU_DEP_1) | instskip(NEXT) | instid1(VALU_DEP_1)
	v_dot2acc_f32_f16 v16, v64, v116
	v_dot2acc_f32_f16 v16, v65, v117
	s_delay_alu instid0(VALU_DEP_1) | instskip(SKIP_1) | instid1(VALU_DEP_1)
	v_add_f32_e32 v48, v16, v123
	v_mov_b32_e32 v16, 0
	v_dot2acc_f32_f16 v16, v58, v114
	s_delay_alu instid0(VALU_DEP_1) | instskip(NEXT) | instid1(VALU_DEP_1)
	v_dot2acc_f32_f16 v16, v59, v115
	v_dot2acc_f32_f16 v16, v60, v116
	s_delay_alu instid0(VALU_DEP_1) | instskip(NEXT) | instid1(VALU_DEP_1)
	v_dot2acc_f32_f16 v16, v61, v117
	v_dual_add_f32 v47, v16, v124 :: v_dual_mov_b32 v16, 0
	s_delay_alu instid0(VALU_DEP_1) | instskip(NEXT) | instid1(VALU_DEP_1)
	v_dot2acc_f32_f16 v16, v56, v114
	v_dot2acc_f32_f16 v16, v54, v115
	s_delay_alu instid0(VALU_DEP_1) | instskip(NEXT) | instid1(VALU_DEP_1)
	v_dot2acc_f32_f16 v16, v53, v116
	v_dot2acc_f32_f16 v16, v51, v117
	s_delay_alu instid0(VALU_DEP_1)
	v_add_f32_e32 v46, v16, v125
	ds_load_b128 v[16:19], v45 offset:544
	s_waitcnt lgkmcnt(0)
	v_dot2acc_f32_f16 v70, v66, v16
	v_dot2acc_f32_f16 v71, v62, v16
	;; [unrolled: 1-line block ×3, first 2 shown]
	s_delay_alu instid0(VALU_DEP_3) | instskip(NEXT) | instid1(VALU_DEP_3)
	v_dual_dot2acc_f32_f16 v73, v56, v16 :: v_dual_dot2acc_f32_f16 v70, v67, v17
	v_dot2acc_f32_f16 v71, v63, v17
	s_delay_alu instid0(VALU_DEP_3) | instskip(NEXT) | instid1(VALU_DEP_3)
	v_dot2acc_f32_f16 v72, v59, v17
	v_dual_dot2acc_f32_f16 v73, v54, v17 :: v_dual_dot2acc_f32_f16 v70, v68, v18
	s_delay_alu instid0(VALU_DEP_3) | instskip(NEXT) | instid1(VALU_DEP_3)
	v_dot2acc_f32_f16 v71, v64, v18
	v_dot2acc_f32_f16 v72, v60, v18
	s_delay_alu instid0(VALU_DEP_3) | instskip(NEXT) | instid1(VALU_DEP_4)
	v_dot2acc_f32_f16 v73, v53, v18
	v_dot2acc_f32_f16 v70, v69, v19
	s_delay_alu instid0(VALU_DEP_4) | instskip(NEXT) | instid1(VALU_DEP_4)
	v_dot2acc_f32_f16 v71, v65, v19
	v_dot2acc_f32_f16 v72, v61, v19
	s_delay_alu instid0(VALU_DEP_4)
	v_dot2acc_f32_f16 v73, v51, v19
	ds_load_b128 v[16:19], v45 offset:1072
	v_dual_add_f32 v70, v98, v70 :: v_dual_add_f32 v71, v71, v99
	v_dual_add_f32 v72, v72, v100 :: v_dual_add_f32 v73, v73, v101
	s_waitcnt lgkmcnt(0)
	v_dot2acc_f32_f16 v74, v66, v16
	v_dot2acc_f32_f16 v75, v62, v16
	v_dot2acc_f32_f16 v76, v58, v16
	s_delay_alu instid0(VALU_DEP_3) | instskip(NEXT) | instid1(VALU_DEP_3)
	v_dot2acc_f32_f16 v74, v67, v17
	v_dot2acc_f32_f16 v75, v63, v17
	s_delay_alu instid0(VALU_DEP_3) | instskip(NEXT) | instid1(VALU_DEP_3)
	v_dot2acc_f32_f16 v76, v59, v17
	v_dot2acc_f32_f16 v74, v68, v18
	;; [unrolled: 3-line block ×4, first 2 shown]
	s_delay_alu instid0(VALU_DEP_3) | instskip(NEXT) | instid1(VALU_DEP_3)
	v_dot2acc_f32_f16 v76, v61, v19
	v_dual_add_f32 v74, v77, v74 :: v_dual_mov_b32 v77, 0
	s_delay_alu instid0(VALU_DEP_2) | instskip(NEXT) | instid1(VALU_DEP_2)
	v_dual_add_f32 v75, v75, v95 :: v_dual_add_f32 v76, v76, v96
	v_dot2acc_f32_f16 v77, v56, v16
	s_delay_alu instid0(VALU_DEP_1) | instskip(NEXT) | instid1(VALU_DEP_1)
	v_dot2acc_f32_f16 v77, v54, v17
	v_dot2acc_f32_f16 v77, v53, v18
	s_delay_alu instid0(VALU_DEP_1) | instskip(SKIP_3) | instid1(VALU_DEP_1)
	v_dot2acc_f32_f16 v77, v51, v19
	ds_load_b128 v[16:19], v45 offset:1600
	s_waitcnt lgkmcnt(0)
	v_dual_add_f32 v77, v77, v97 :: v_dual_dot2acc_f32_f16 v78, v66, v16
	v_dot2acc_f32_f16 v78, v67, v17
	s_delay_alu instid0(VALU_DEP_1) | instskip(NEXT) | instid1(VALU_DEP_1)
	v_dot2acc_f32_f16 v78, v68, v18
	v_dot2acc_f32_f16 v78, v69, v19
	s_delay_alu instid0(VALU_DEP_1) | instskip(NEXT) | instid1(VALU_DEP_1)
	v_dual_add_f32 v78, v87, v78 :: v_dual_mov_b32 v87, 0
	v_dot2acc_f32_f16 v87, v62, v16
	s_delay_alu instid0(VALU_DEP_1) | instskip(NEXT) | instid1(VALU_DEP_1)
	v_dot2acc_f32_f16 v87, v63, v17
	v_dot2acc_f32_f16 v87, v64, v18
	s_delay_alu instid0(VALU_DEP_1) | instskip(NEXT) | instid1(VALU_DEP_1)
	v_dot2acc_f32_f16 v87, v65, v19
	v_dual_add_f32 v87, v87, v88 :: v_dual_mov_b32 v88, 0
	s_delay_alu instid0(VALU_DEP_1) | instskip(NEXT) | instid1(VALU_DEP_1)
	v_dot2acc_f32_f16 v88, v58, v16
	v_dot2acc_f32_f16 v88, v59, v17
	s_delay_alu instid0(VALU_DEP_1) | instskip(NEXT) | instid1(VALU_DEP_1)
	v_dot2acc_f32_f16 v88, v60, v18
	v_dot2acc_f32_f16 v88, v61, v19
	s_delay_alu instid0(VALU_DEP_1) | instskip(NEXT) | instid1(VALU_DEP_1)
	v_dual_add_f32 v88, v88, v89 :: v_dual_mov_b32 v89, 0
	v_dot2acc_f32_f16 v89, v56, v16
	s_delay_alu instid0(VALU_DEP_1) | instskip(NEXT) | instid1(VALU_DEP_1)
	v_dot2acc_f32_f16 v89, v54, v17
	v_dot2acc_f32_f16 v89, v53, v18
	s_delay_alu instid0(VALU_DEP_1) | instskip(SKIP_3) | instid1(VALU_DEP_1)
	v_dot2acc_f32_f16 v89, v51, v19
	ds_load_b128 v[16:19], v45 offset:2128
	v_dual_add_f32 v89, v89, v94 :: v_dual_mov_b32 v94, 0
	s_waitcnt lgkmcnt(0)
	v_dot2acc_f32_f16 v94, v66, v16
	s_delay_alu instid0(VALU_DEP_1) | instskip(NEXT) | instid1(VALU_DEP_1)
	v_dot2acc_f32_f16 v94, v67, v17
	v_dot2acc_f32_f16 v94, v68, v18
	s_delay_alu instid0(VALU_DEP_1) | instskip(NEXT) | instid1(VALU_DEP_1)
	v_dot2acc_f32_f16 v94, v69, v19
	v_add_f32_e32 v90, v90, v94
	v_mov_b32_e32 v94, 0
	s_delay_alu instid0(VALU_DEP_1) | instskip(NEXT) | instid1(VALU_DEP_1)
	v_dot2acc_f32_f16 v94, v62, v16
	v_dot2acc_f32_f16 v94, v63, v17
	s_delay_alu instid0(VALU_DEP_1) | instskip(NEXT) | instid1(VALU_DEP_1)
	v_dot2acc_f32_f16 v94, v64, v18
	v_dot2acc_f32_f16 v94, v65, v19
	s_delay_alu instid0(VALU_DEP_1) | instskip(NEXT) | instid1(VALU_DEP_1)
	v_dual_add_f32 v91, v94, v91 :: v_dual_mov_b32 v94, 0
	v_dot2acc_f32_f16 v94, v58, v16
	s_delay_alu instid0(VALU_DEP_1) | instskip(NEXT) | instid1(VALU_DEP_1)
	v_dot2acc_f32_f16 v94, v59, v17
	v_dot2acc_f32_f16 v94, v60, v18
	s_delay_alu instid0(VALU_DEP_1) | instskip(NEXT) | instid1(VALU_DEP_1)
	v_dot2acc_f32_f16 v94, v61, v19
	v_add_f32_e32 v92, v94, v92
	v_mov_b32_e32 v94, 0
	s_delay_alu instid0(VALU_DEP_1) | instskip(NEXT) | instid1(VALU_DEP_1)
	v_dot2acc_f32_f16 v94, v56, v16
	v_dot2acc_f32_f16 v94, v54, v17
	s_delay_alu instid0(VALU_DEP_1) | instskip(NEXT) | instid1(VALU_DEP_1)
	v_dot2acc_f32_f16 v94, v53, v18
	v_dot2acc_f32_f16 v94, v51, v19
	ds_load_b128 v[16:19], v45 offset:2656
	v_dual_add_f32 v93, v94, v93 :: v_dual_mov_b32 v94, 0
	s_waitcnt lgkmcnt(0)
	s_delay_alu instid0(VALU_DEP_1) | instskip(NEXT) | instid1(VALU_DEP_1)
	v_dot2acc_f32_f16 v94, v66, v16
	v_dot2acc_f32_f16 v94, v67, v17
	s_delay_alu instid0(VALU_DEP_1) | instskip(NEXT) | instid1(VALU_DEP_1)
	v_dot2acc_f32_f16 v94, v68, v18
	v_dot2acc_f32_f16 v94, v69, v19
	s_delay_alu instid0(VALU_DEP_1) | instskip(NEXT) | instid1(VALU_DEP_1)
	v_dual_add_f32 v83, v83, v94 :: v_dual_mov_b32 v94, 0
	v_dot2acc_f32_f16 v94, v62, v16
	s_delay_alu instid0(VALU_DEP_1) | instskip(NEXT) | instid1(VALU_DEP_1)
	v_dot2acc_f32_f16 v94, v63, v17
	v_dot2acc_f32_f16 v94, v64, v18
	s_delay_alu instid0(VALU_DEP_1) | instskip(NEXT) | instid1(VALU_DEP_1)
	v_dot2acc_f32_f16 v94, v65, v19
	v_add_f32_e32 v84, v94, v84
	v_mov_b32_e32 v94, 0
	s_delay_alu instid0(VALU_DEP_1) | instskip(NEXT) | instid1(VALU_DEP_1)
	v_dot2acc_f32_f16 v94, v58, v16
	v_dot2acc_f32_f16 v94, v59, v17
	s_delay_alu instid0(VALU_DEP_1) | instskip(NEXT) | instid1(VALU_DEP_1)
	v_dot2acc_f32_f16 v94, v60, v18
	v_dot2acc_f32_f16 v94, v61, v19
	s_delay_alu instid0(VALU_DEP_1) | instskip(NEXT) | instid1(VALU_DEP_1)
	v_dual_add_f32 v85, v94, v85 :: v_dual_mov_b32 v94, 0
	v_dot2acc_f32_f16 v94, v56, v16
	s_delay_alu instid0(VALU_DEP_1) | instskip(NEXT) | instid1(VALU_DEP_1)
	v_dot2acc_f32_f16 v94, v54, v17
	v_dot2acc_f32_f16 v94, v53, v18
	s_delay_alu instid0(VALU_DEP_1) | instskip(SKIP_4) | instid1(VALU_DEP_1)
	v_dot2acc_f32_f16 v94, v51, v19
	ds_load_b128 v[16:19], v45 offset:3184
	v_add_f32_e32 v86, v94, v86
	v_mov_b32_e32 v94, 0
	s_waitcnt lgkmcnt(0)
	v_dot2acc_f32_f16 v94, v66, v16
	s_delay_alu instid0(VALU_DEP_1) | instskip(NEXT) | instid1(VALU_DEP_1)
	v_dot2acc_f32_f16 v94, v67, v17
	v_dot2acc_f32_f16 v94, v68, v18
	s_delay_alu instid0(VALU_DEP_1) | instskip(NEXT) | instid1(VALU_DEP_1)
	v_dot2acc_f32_f16 v94, v69, v19
	v_dual_add_f32 v79, v79, v94 :: v_dual_mov_b32 v94, 0
	s_delay_alu instid0(VALU_DEP_1) | instskip(NEXT) | instid1(VALU_DEP_1)
	v_dot2acc_f32_f16 v94, v62, v16
	v_dot2acc_f32_f16 v94, v63, v17
	s_delay_alu instid0(VALU_DEP_1) | instskip(NEXT) | instid1(VALU_DEP_1)
	v_dot2acc_f32_f16 v94, v64, v18
	v_dot2acc_f32_f16 v94, v65, v19
	s_delay_alu instid0(VALU_DEP_1) | instskip(SKIP_1) | instid1(VALU_DEP_1)
	v_add_f32_e32 v80, v94, v80
	v_mov_b32_e32 v94, 0
	v_dot2acc_f32_f16 v94, v58, v16
	s_delay_alu instid0(VALU_DEP_1) | instskip(NEXT) | instid1(VALU_DEP_1)
	v_dot2acc_f32_f16 v94, v59, v17
	v_dot2acc_f32_f16 v94, v60, v18
	s_delay_alu instid0(VALU_DEP_1) | instskip(NEXT) | instid1(VALU_DEP_1)
	v_dot2acc_f32_f16 v94, v61, v19
	v_dual_add_f32 v81, v94, v81 :: v_dual_mov_b32 v94, 0
	s_delay_alu instid0(VALU_DEP_1) | instskip(NEXT) | instid1(VALU_DEP_1)
	v_dot2acc_f32_f16 v94, v56, v16
	v_dot2acc_f32_f16 v94, v54, v17
	s_delay_alu instid0(VALU_DEP_1) | instskip(NEXT) | instid1(VALU_DEP_1)
	v_dot2acc_f32_f16 v94, v53, v18
	v_dot2acc_f32_f16 v94, v51, v19
	ds_load_b128 v[16:19], v45 offset:3712
	v_add_f32_e32 v94, v94, v82
	v_mov_b32_e32 v82, 0
	s_waitcnt lgkmcnt(0)
	s_delay_alu instid0(VALU_DEP_1) | instskip(NEXT) | instid1(VALU_DEP_1)
	v_dot2acc_f32_f16 v82, v66, v16
	v_dot2acc_f32_f16 v82, v67, v17
	s_delay_alu instid0(VALU_DEP_1) | instskip(NEXT) | instid1(VALU_DEP_1)
	v_dot2acc_f32_f16 v82, v68, v18
	v_dot2acc_f32_f16 v82, v69, v19
	s_delay_alu instid0(VALU_DEP_1) | instskip(SKIP_1) | instid1(VALU_DEP_1)
	v_add_f32_e32 v95, v57, v82
	v_mov_b32_e32 v57, 0
	v_dot2acc_f32_f16 v57, v62, v16
	s_delay_alu instid0(VALU_DEP_1) | instskip(NEXT) | instid1(VALU_DEP_1)
	v_dot2acc_f32_f16 v57, v63, v17
	v_dot2acc_f32_f16 v57, v64, v18
	s_delay_alu instid0(VALU_DEP_1) | instskip(NEXT) | instid1(VALU_DEP_1)
	v_dot2acc_f32_f16 v57, v65, v19
	v_dual_add_f32 v96, v57, v55 :: v_dual_mov_b32 v55, 0
	s_delay_alu instid0(VALU_DEP_1) | instskip(NEXT) | instid1(VALU_DEP_1)
	v_dot2acc_f32_f16 v55, v58, v16
	v_dot2acc_f32_f16 v55, v59, v17
	s_delay_alu instid0(VALU_DEP_1) | instskip(NEXT) | instid1(VALU_DEP_1)
	v_dot2acc_f32_f16 v55, v60, v18
	v_dot2acc_f32_f16 v55, v61, v19
	s_delay_alu instid0(VALU_DEP_1) | instskip(NEXT) | instid1(VALU_DEP_1)
	v_dual_add_f32 v52, v55, v52 :: v_dual_mov_b32 v55, 0
	v_dot2acc_f32_f16 v55, v56, v16
	s_delay_alu instid0(VALU_DEP_1) | instskip(SKIP_2) | instid1(VALU_DEP_2)
	v_dot2acc_f32_f16 v55, v54, v17
	s_waitcnt vmcnt(1)
	v_and_or_b32 v17, v8, s5, 0x64006400
	v_dot2acc_f32_f16 v55, v53, v18
	v_and_or_b32 v18, v8, s16, 0x64006400
	v_lshrrev_b32_e32 v8, 8, v8
	s_delay_alu instid0(VALU_DEP_3) | instskip(SKIP_1) | instid1(VALU_DEP_3)
	v_dot2acc_f32_f16 v55, v51, v19
	v_and_or_b32 v51, v9, s16, 0x64006400
	v_and_or_b32 v19, v8, s5, 0x64006400
	s_delay_alu instid0(VALU_DEP_3)
	v_add_f32_e32 v16, v55, v50
	v_and_or_b32 v50, v8, s16, 0x64006400
	v_pk_fma_f16 v8, v17, v29, v37
	v_pk_fma_f16 v17, v18, v31, v41
	;; [unrolled: 1-line block ×5, first 2 shown]
	v_and_or_b32 v50, v9, s5, 0x64006400
	v_lshrrev_b32_e32 v9, 8, v9
	v_and_or_b32 v51, v10, s16, 0x64006400
	s_delay_alu instid0(VALU_DEP_2)
	v_and_or_b32 v54, v9, s5, 0x64006400
	v_and_or_b32 v55, v9, s16, 0x64006400
	v_pk_fma_f16 v9, v50, v30, v40
	v_and_or_b32 v50, v10, s5, 0x64006400
	v_lshrrev_b32_e32 v10, 8, v10
	v_pk_fma_f16 v97, v54, v30, v40
	v_pk_fma_f16 v98, v55, v32, v42
	;; [unrolled: 1-line block ×4, first 2 shown]
	v_and_or_b32 v54, v10, s5, 0x64006400
	v_and_or_b32 v10, v10, s16, 0x64006400
	;; [unrolled: 1-line block ×3, first 2 shown]
	s_delay_alu instid0(VALU_DEP_3) | instskip(NEXT) | instid1(VALU_DEP_3)
	v_pk_fma_f16 v101, v54, v33, v38
	v_pk_fma_f16 v102, v10, v34, v43
	v_and_or_b32 v10, v11, s5, 0x64006400
	v_lshrrev_b32_e32 v11, 8, v11
	v_pk_fma_f16 v104, v50, v36, v44
	s_delay_alu instid0(VALU_DEP_3) | instskip(SKIP_1) | instid1(VALU_DEP_4)
	v_pk_fma_f16 v103, v10, v35, v39
	v_mov_b32_e32 v10, 0
	v_and_or_b32 v51, v11, s5, 0x64006400
	v_and_or_b32 v11, v11, s16, 0x64006400
	s_delay_alu instid0(VALU_DEP_3) | instskip(NEXT) | instid1(VALU_DEP_3)
	v_dot2acc_f32_f16 v10, v8, v12
	v_pk_fma_f16 v105, v51, v35, v39
	s_delay_alu instid0(VALU_DEP_3) | instskip(NEXT) | instid1(VALU_DEP_3)
	v_pk_fma_f16 v106, v11, v36, v44
	v_dot2acc_f32_f16 v10, v17, v13
	s_delay_alu instid0(VALU_DEP_1) | instskip(NEXT) | instid1(VALU_DEP_1)
	v_dot2acc_f32_f16 v10, v18, v14
	v_dot2acc_f32_f16 v10, v19, v15
	s_delay_alu instid0(VALU_DEP_1) | instskip(NEXT) | instid1(VALU_DEP_1)
	v_dual_add_f32 v107, v49, v10 :: v_dual_mov_b32 v10, 0
	v_dot2acc_f32_f16 v10, v9, v12
	s_delay_alu instid0(VALU_DEP_1) | instskip(NEXT) | instid1(VALU_DEP_1)
	v_dot2acc_f32_f16 v10, v53, v13
	v_dot2acc_f32_f16 v10, v97, v14
	s_delay_alu instid0(VALU_DEP_1) | instskip(NEXT) | instid1(VALU_DEP_1)
	v_dot2acc_f32_f16 v10, v98, v15
	v_add_f32_e32 v108, v10, v48
	v_mov_b32_e32 v10, 0
	s_delay_alu instid0(VALU_DEP_1) | instskip(NEXT) | instid1(VALU_DEP_1)
	v_dot2acc_f32_f16 v10, v99, v12
	v_dot2acc_f32_f16 v10, v100, v13
	s_delay_alu instid0(VALU_DEP_1) | instskip(NEXT) | instid1(VALU_DEP_1)
	v_dot2acc_f32_f16 v10, v101, v14
	v_dot2acc_f32_f16 v10, v102, v15
	s_delay_alu instid0(VALU_DEP_1) | instskip(NEXT) | instid1(VALU_DEP_1)
	v_dual_add_f32 v109, v10, v47 :: v_dual_mov_b32 v10, 0
	v_dot2acc_f32_f16 v10, v103, v12
	s_delay_alu instid0(VALU_DEP_1) | instskip(NEXT) | instid1(VALU_DEP_1)
	v_dot2acc_f32_f16 v10, v104, v13
	v_dot2acc_f32_f16 v10, v105, v14
	v_mov_b32_e32 v14, 0
	s_delay_alu instid0(VALU_DEP_2) | instskip(NEXT) | instid1(VALU_DEP_1)
	v_dot2acc_f32_f16 v10, v106, v15
	v_add_f32_e32 v110, v10, v46
	ds_load_b128 v[10:13], v45 offset:560
	ds_load_b128 v[46:49], v45 offset:3728
	s_waitcnt lgkmcnt(1)
	v_dot2acc_f32_f16 v14, v8, v10
	s_delay_alu instid0(VALU_DEP_1) | instskip(NEXT) | instid1(VALU_DEP_1)
	v_dot2acc_f32_f16 v14, v17, v11
	v_dot2acc_f32_f16 v14, v18, v12
	s_delay_alu instid0(VALU_DEP_1) | instskip(NEXT) | instid1(VALU_DEP_1)
	v_dot2acc_f32_f16 v14, v19, v13
	v_add_f32_e32 v50, v70, v14
	v_mov_b32_e32 v14, 0
	s_delay_alu instid0(VALU_DEP_1) | instskip(NEXT) | instid1(VALU_DEP_1)
	v_dot2acc_f32_f16 v14, v9, v10
	v_dot2acc_f32_f16 v14, v53, v11
	s_delay_alu instid0(VALU_DEP_1) | instskip(NEXT) | instid1(VALU_DEP_1)
	v_dot2acc_f32_f16 v14, v97, v12
	v_dot2acc_f32_f16 v14, v98, v13
	s_delay_alu instid0(VALU_DEP_1) | instskip(NEXT) | instid1(VALU_DEP_1)
	v_dual_add_f32 v51, v14, v71 :: v_dual_mov_b32 v14, 0
	v_dot2acc_f32_f16 v14, v99, v10
	s_delay_alu instid0(VALU_DEP_1) | instskip(NEXT) | instid1(VALU_DEP_1)
	v_dot2acc_f32_f16 v14, v100, v11
	v_dot2acc_f32_f16 v14, v101, v12
	s_delay_alu instid0(VALU_DEP_1) | instskip(NEXT) | instid1(VALU_DEP_1)
	v_dot2acc_f32_f16 v14, v102, v13
	v_add_f32_e32 v56, v14, v72
	v_mov_b32_e32 v14, 0
	s_delay_alu instid0(VALU_DEP_1) | instskip(NEXT) | instid1(VALU_DEP_1)
	v_dot2acc_f32_f16 v14, v103, v10
	v_dot2acc_f32_f16 v14, v104, v11
	s_delay_alu instid0(VALU_DEP_1) | instskip(NEXT) | instid1(VALU_DEP_1)
	v_dot2acc_f32_f16 v14, v105, v12
	v_dot2acc_f32_f16 v14, v106, v13
	ds_load_b128 v[10:13], v45 offset:1088
	v_dual_add_f32 v57, v14, v73 :: v_dual_mov_b32 v14, 0
	s_waitcnt lgkmcnt(0)
	s_delay_alu instid0(VALU_DEP_1) | instskip(NEXT) | instid1(VALU_DEP_1)
	v_dot2acc_f32_f16 v14, v8, v10
	v_dot2acc_f32_f16 v14, v17, v11
	s_delay_alu instid0(VALU_DEP_1) | instskip(NEXT) | instid1(VALU_DEP_1)
	v_dot2acc_f32_f16 v14, v18, v12
	v_dot2acc_f32_f16 v14, v19, v13
	s_delay_alu instid0(VALU_DEP_1) | instskip(SKIP_1) | instid1(VALU_DEP_1)
	v_add_f32_e32 v54, v74, v14
	v_mov_b32_e32 v14, 0
	v_dot2acc_f32_f16 v14, v9, v10
	s_delay_alu instid0(VALU_DEP_1) | instskip(NEXT) | instid1(VALU_DEP_1)
	v_dot2acc_f32_f16 v14, v53, v11
	v_dot2acc_f32_f16 v14, v97, v12
	s_delay_alu instid0(VALU_DEP_1) | instskip(NEXT) | instid1(VALU_DEP_1)
	v_dot2acc_f32_f16 v14, v98, v13
	v_dual_add_f32 v55, v14, v75 :: v_dual_mov_b32 v14, 0
	s_delay_alu instid0(VALU_DEP_1) | instskip(NEXT) | instid1(VALU_DEP_1)
	v_dot2acc_f32_f16 v14, v99, v10
	v_dot2acc_f32_f16 v14, v100, v11
	s_delay_alu instid0(VALU_DEP_1) | instskip(NEXT) | instid1(VALU_DEP_1)
	v_dot2acc_f32_f16 v14, v101, v12
	v_dot2acc_f32_f16 v14, v102, v13
	s_delay_alu instid0(VALU_DEP_1) | instskip(SKIP_1) | instid1(VALU_DEP_1)
	v_add_f32_e32 v60, v14, v76
	v_mov_b32_e32 v14, 0
	v_dot2acc_f32_f16 v14, v103, v10
	s_delay_alu instid0(VALU_DEP_1) | instskip(NEXT) | instid1(VALU_DEP_1)
	v_dot2acc_f32_f16 v14, v104, v11
	v_dot2acc_f32_f16 v14, v105, v12
	s_delay_alu instid0(VALU_DEP_1) | instskip(SKIP_3) | instid1(VALU_DEP_1)
	v_dot2acc_f32_f16 v14, v106, v13
	ds_load_b128 v[10:13], v45 offset:1616
	v_dual_add_f32 v61, v14, v77 :: v_dual_mov_b32 v14, 0
	s_waitcnt lgkmcnt(0)
	v_dot2acc_f32_f16 v14, v8, v10
	s_delay_alu instid0(VALU_DEP_1) | instskip(NEXT) | instid1(VALU_DEP_1)
	v_dot2acc_f32_f16 v14, v17, v11
	v_dot2acc_f32_f16 v14, v18, v12
	s_delay_alu instid0(VALU_DEP_1) | instskip(NEXT) | instid1(VALU_DEP_1)
	v_dot2acc_f32_f16 v14, v19, v13
	v_add_f32_e32 v58, v78, v14
	v_mov_b32_e32 v14, 0
	s_delay_alu instid0(VALU_DEP_1) | instskip(NEXT) | instid1(VALU_DEP_1)
	v_dot2acc_f32_f16 v14, v9, v10
	v_dot2acc_f32_f16 v14, v53, v11
	s_delay_alu instid0(VALU_DEP_1) | instskip(NEXT) | instid1(VALU_DEP_1)
	v_dot2acc_f32_f16 v14, v97, v12
	v_dot2acc_f32_f16 v14, v98, v13
	s_delay_alu instid0(VALU_DEP_1) | instskip(NEXT) | instid1(VALU_DEP_1)
	v_dual_add_f32 v59, v14, v87 :: v_dual_mov_b32 v14, 0
	v_dot2acc_f32_f16 v14, v99, v10
	s_delay_alu instid0(VALU_DEP_1) | instskip(NEXT) | instid1(VALU_DEP_1)
	v_dot2acc_f32_f16 v14, v100, v11
	v_dot2acc_f32_f16 v14, v101, v12
	s_delay_alu instid0(VALU_DEP_1) | instskip(NEXT) | instid1(VALU_DEP_1)
	v_dot2acc_f32_f16 v14, v102, v13
	v_add_f32_e32 v64, v14, v88
	v_mov_b32_e32 v14, 0
	s_delay_alu instid0(VALU_DEP_1) | instskip(NEXT) | instid1(VALU_DEP_1)
	v_dot2acc_f32_f16 v14, v103, v10
	v_dot2acc_f32_f16 v14, v104, v11
	s_delay_alu instid0(VALU_DEP_1) | instskip(NEXT) | instid1(VALU_DEP_1)
	v_dot2acc_f32_f16 v14, v105, v12
	v_dot2acc_f32_f16 v14, v106, v13
	ds_load_b128 v[10:13], v45 offset:2144
	v_dual_add_f32 v65, v14, v89 :: v_dual_mov_b32 v14, 0
	s_waitcnt lgkmcnt(0)
	s_delay_alu instid0(VALU_DEP_1) | instskip(NEXT) | instid1(VALU_DEP_1)
	v_dot2acc_f32_f16 v14, v8, v10
	v_dot2acc_f32_f16 v14, v17, v11
	s_delay_alu instid0(VALU_DEP_1) | instskip(NEXT) | instid1(VALU_DEP_1)
	v_dot2acc_f32_f16 v14, v18, v12
	v_dot2acc_f32_f16 v14, v19, v13
	s_delay_alu instid0(VALU_DEP_1) | instskip(SKIP_1) | instid1(VALU_DEP_1)
	v_add_f32_e32 v62, v90, v14
	v_mov_b32_e32 v14, 0
	v_dot2acc_f32_f16 v14, v9, v10
	s_delay_alu instid0(VALU_DEP_1) | instskip(NEXT) | instid1(VALU_DEP_1)
	v_dot2acc_f32_f16 v14, v53, v11
	v_dot2acc_f32_f16 v14, v97, v12
	s_delay_alu instid0(VALU_DEP_1) | instskip(NEXT) | instid1(VALU_DEP_1)
	v_dot2acc_f32_f16 v14, v98, v13
	v_dual_add_f32 v63, v14, v91 :: v_dual_mov_b32 v14, 0
	s_delay_alu instid0(VALU_DEP_1) | instskip(NEXT) | instid1(VALU_DEP_1)
	v_dot2acc_f32_f16 v14, v99, v10
	v_dot2acc_f32_f16 v14, v100, v11
	s_delay_alu instid0(VALU_DEP_1) | instskip(NEXT) | instid1(VALU_DEP_1)
	v_dot2acc_f32_f16 v14, v101, v12
	v_dot2acc_f32_f16 v14, v102, v13
	s_delay_alu instid0(VALU_DEP_1) | instskip(SKIP_1) | instid1(VALU_DEP_1)
	v_add_f32_e32 v68, v14, v92
	v_mov_b32_e32 v14, 0
	v_dot2acc_f32_f16 v14, v103, v10
	s_delay_alu instid0(VALU_DEP_1) | instskip(NEXT) | instid1(VALU_DEP_1)
	v_dot2acc_f32_f16 v14, v104, v11
	v_dot2acc_f32_f16 v14, v105, v12
	s_delay_alu instid0(VALU_DEP_1) | instskip(SKIP_3) | instid1(VALU_DEP_1)
	v_dot2acc_f32_f16 v14, v106, v13
	ds_load_b128 v[10:13], v45 offset:2672
	v_dual_add_f32 v69, v14, v93 :: v_dual_mov_b32 v14, 0
	s_waitcnt lgkmcnt(0)
	v_dot2acc_f32_f16 v14, v8, v10
	s_delay_alu instid0(VALU_DEP_1) | instskip(NEXT) | instid1(VALU_DEP_1)
	v_dot2acc_f32_f16 v14, v17, v11
	v_dot2acc_f32_f16 v14, v18, v12
	s_delay_alu instid0(VALU_DEP_1) | instskip(NEXT) | instid1(VALU_DEP_1)
	v_dot2acc_f32_f16 v14, v19, v13
	v_add_f32_e32 v66, v83, v14
	v_mov_b32_e32 v14, 0
	s_delay_alu instid0(VALU_DEP_1) | instskip(NEXT) | instid1(VALU_DEP_1)
	v_dot2acc_f32_f16 v14, v9, v10
	v_dot2acc_f32_f16 v14, v53, v11
	s_delay_alu instid0(VALU_DEP_1) | instskip(NEXT) | instid1(VALU_DEP_1)
	v_dot2acc_f32_f16 v14, v97, v12
	v_dot2acc_f32_f16 v14, v98, v13
	s_delay_alu instid0(VALU_DEP_1) | instskip(NEXT) | instid1(VALU_DEP_1)
	v_dual_add_f32 v67, v14, v84 :: v_dual_mov_b32 v14, 0
	v_dot2acc_f32_f16 v14, v99, v10
	s_delay_alu instid0(VALU_DEP_1) | instskip(NEXT) | instid1(VALU_DEP_1)
	v_dot2acc_f32_f16 v14, v100, v11
	v_dot2acc_f32_f16 v14, v101, v12
	s_delay_alu instid0(VALU_DEP_1) | instskip(NEXT) | instid1(VALU_DEP_1)
	v_dot2acc_f32_f16 v14, v102, v13
	v_add_f32_e32 v72, v14, v85
	v_mov_b32_e32 v14, 0
	s_delay_alu instid0(VALU_DEP_1) | instskip(NEXT) | instid1(VALU_DEP_1)
	v_dot2acc_f32_f16 v14, v103, v10
	v_dot2acc_f32_f16 v14, v104, v11
	s_delay_alu instid0(VALU_DEP_1) | instskip(NEXT) | instid1(VALU_DEP_1)
	v_dot2acc_f32_f16 v14, v105, v12
	v_dot2acc_f32_f16 v14, v106, v13
	ds_load_b128 v[10:13], v45 offset:3200
	v_dual_add_f32 v73, v14, v86 :: v_dual_mov_b32 v14, 0
	s_waitcnt lgkmcnt(0)
	s_delay_alu instid0(VALU_DEP_1) | instskip(NEXT) | instid1(VALU_DEP_1)
	v_dot2acc_f32_f16 v14, v8, v10
	v_dot2acc_f32_f16 v14, v17, v11
	s_delay_alu instid0(VALU_DEP_1) | instskip(NEXT) | instid1(VALU_DEP_1)
	v_dot2acc_f32_f16 v14, v18, v12
	v_dot2acc_f32_f16 v14, v19, v13
	s_delay_alu instid0(VALU_DEP_1) | instskip(SKIP_1) | instid1(VALU_DEP_1)
	v_add_f32_e32 v70, v79, v14
	v_mov_b32_e32 v14, 0
	v_dot2acc_f32_f16 v14, v9, v10
	s_delay_alu instid0(VALU_DEP_1) | instskip(NEXT) | instid1(VALU_DEP_1)
	v_dot2acc_f32_f16 v14, v53, v11
	v_dot2acc_f32_f16 v14, v97, v12
	s_delay_alu instid0(VALU_DEP_1) | instskip(NEXT) | instid1(VALU_DEP_1)
	v_dot2acc_f32_f16 v14, v98, v13
	v_dual_add_f32 v71, v14, v80 :: v_dual_mov_b32 v14, 0
	s_delay_alu instid0(VALU_DEP_1) | instskip(NEXT) | instid1(VALU_DEP_1)
	v_dot2acc_f32_f16 v14, v99, v10
	v_dot2acc_f32_f16 v14, v100, v11
	s_delay_alu instid0(VALU_DEP_1) | instskip(NEXT) | instid1(VALU_DEP_1)
	v_dot2acc_f32_f16 v14, v101, v12
	v_dot2acc_f32_f16 v14, v102, v13
	s_delay_alu instid0(VALU_DEP_1) | instskip(SKIP_1) | instid1(VALU_DEP_1)
	v_add_f32_e32 v82, v14, v81
	v_mov_b32_e32 v14, 0
	v_dot2acc_f32_f16 v14, v103, v10
	v_mov_b32_e32 v10, 0
	s_delay_alu instid0(VALU_DEP_2) | instskip(NEXT) | instid1(VALU_DEP_2)
	v_dot2acc_f32_f16 v14, v104, v11
	v_dot2acc_f32_f16 v10, v8, v46
	v_mov_b32_e32 v8, 0
	s_delay_alu instid0(VALU_DEP_3) | instskip(NEXT) | instid1(VALU_DEP_3)
	v_dot2acc_f32_f16 v14, v105, v12
	v_dot2acc_f32_f16 v10, v17, v47
	s_delay_alu instid0(VALU_DEP_3)
	v_dot2acc_f32_f16 v8, v9, v46
	s_waitcnt vmcnt(0)
	v_and_or_b32 v9, v0, s5, 0x64006400
	v_dot2acc_f32_f16 v14, v106, v13
	v_dot2acc_f32_f16 v10, v18, v48
	;; [unrolled: 1-line block ×3, first 2 shown]
	s_delay_alu instid0(VALU_DEP_4) | instskip(SKIP_1) | instid1(VALU_DEP_4)
	v_pk_fma_f16 v78, v9, v29, v37
	v_and_or_b32 v9, v1, s16, 0x64006400
	v_dual_add_f32 v83, v14, v94 :: v_dual_dot2acc_f32_f16 v10, v19, v49
	s_delay_alu instid0(VALU_DEP_4) | instskip(NEXT) | instid1(VALU_DEP_3)
	v_dot2acc_f32_f16 v8, v97, v48
	v_pk_fma_f16 v75, v9, v32, v42
	s_delay_alu instid0(VALU_DEP_2) | instskip(SKIP_2) | instid1(VALU_DEP_3)
	v_dual_add_f32 v15, v95, v10 :: v_dual_dot2acc_f32_f16 v8, v98, v49
	v_and_or_b32 v10, v0, s16, 0x64006400
	v_lshrrev_b32_e32 v0, 8, v0
	v_dual_add_f32 v13, v8, v96 :: v_dual_mov_b32 v8, 0
	s_delay_alu instid0(VALU_DEP_2) | instskip(SKIP_2) | instid1(VALU_DEP_4)
	v_and_or_b32 v12, v0, s5, 0x64006400
	v_and_or_b32 v0, v0, s16, 0x64006400
	v_pk_fma_f16 v79, v10, v31, v41
	v_dot2acc_f32_f16 v8, v99, v46
	s_delay_alu instid0(VALU_DEP_4) | instskip(NEXT) | instid1(VALU_DEP_4)
	v_pk_fma_f16 v80, v12, v29, v37
	v_pk_fma_f16 v81, v0, v31, v41
	v_and_or_b32 v0, v1, s5, 0x64006400
	v_lshrrev_b32_e32 v1, 8, v1
	v_dot2acc_f32_f16 v8, v100, v47
	s_delay_alu instid0(VALU_DEP_3) | instskip(SKIP_1) | instid1(VALU_DEP_3)
	v_pk_fma_f16 v74, v0, v30, v40
	v_and_or_b32 v0, v2, s5, 0x64006400
	v_dot2acc_f32_f16 v8, v101, v48
	v_and_or_b32 v10, v1, s5, 0x64006400
	v_and_or_b32 v1, v1, s16, 0x64006400
	s_delay_alu instid0(VALU_DEP_3) | instskip(NEXT) | instid1(VALU_DEP_3)
	v_dot2acc_f32_f16 v8, v102, v49
	v_pk_fma_f16 v76, v10, v30, v40
	s_delay_alu instid0(VALU_DEP_3) | instskip(SKIP_3) | instid1(VALU_DEP_3)
	v_pk_fma_f16 v77, v1, v32, v42
	v_and_or_b32 v1, v2, s16, 0x64006400
	v_lshrrev_b32_e32 v2, 8, v2
	v_dual_add_f32 v11, v8, v52 :: v_dual_mov_b32 v8, 0
	v_pk_fma_f16 v17, v1, v34, v43
	s_delay_alu instid0(VALU_DEP_3) | instskip(SKIP_1) | instid1(VALU_DEP_4)
	v_and_or_b32 v9, v2, s5, 0x64006400
	v_and_or_b32 v2, v2, s16, 0x64006400
	v_dot2acc_f32_f16 v8, v103, v46
	v_and_or_b32 v1, v3, s16, 0x64006400
	s_delay_alu instid0(VALU_DEP_4) | instskip(NEXT) | instid1(VALU_DEP_4)
	v_pk_fma_f16 v18, v9, v33, v38
	v_pk_fma_f16 v19, v2, v34, v43
	s_delay_alu instid0(VALU_DEP_4) | instskip(SKIP_2) | instid1(VALU_DEP_3)
	v_dot2acc_f32_f16 v8, v104, v47
	v_lshrrev_b32_e32 v2, 8, v3
	v_pk_fma_f16 v12, v1, v36, v44
	v_dot2acc_f32_f16 v8, v105, v48
	s_delay_alu instid0(VALU_DEP_1) | instskip(NEXT) | instid1(VALU_DEP_1)
	v_dot2acc_f32_f16 v8, v106, v49
	v_add_f32_e32 v8, v8, v16
	v_pk_fma_f16 v16, v0, v33, v38
	v_and_or_b32 v0, v3, s5, 0x64006400
	v_and_or_b32 v3, v2, s5, 0x64006400
	;; [unrolled: 1-line block ×3, first 2 shown]
	s_delay_alu instid0(VALU_DEP_3) | instskip(SKIP_1) | instid1(VALU_DEP_4)
	v_pk_fma_f16 v14, v0, v35, v39
	v_mov_b32_e32 v0, 0
	v_pk_fma_f16 v10, v3, v35, v39
	s_delay_alu instid0(VALU_DEP_4) | instskip(NEXT) | instid1(VALU_DEP_3)
	v_pk_fma_f16 v9, v2, v36, v44
	v_dot2acc_f32_f16 v0, v78, v4
	s_delay_alu instid0(VALU_DEP_1) | instskip(NEXT) | instid1(VALU_DEP_1)
	v_dot2acc_f32_f16 v0, v79, v5
	v_dot2acc_f32_f16 v0, v80, v6
	s_delay_alu instid0(VALU_DEP_1) | instskip(NEXT) | instid1(VALU_DEP_1)
	v_dot2acc_f32_f16 v0, v81, v7
	v_dual_add_f32 v49, v107, v0 :: v_dual_mov_b32 v0, 0
	s_delay_alu instid0(VALU_DEP_1) | instskip(NEXT) | instid1(VALU_DEP_1)
	v_dot2acc_f32_f16 v0, v74, v4
	v_dot2acc_f32_f16 v0, v75, v5
	s_delay_alu instid0(VALU_DEP_1) | instskip(NEXT) | instid1(VALU_DEP_1)
	v_dot2acc_f32_f16 v0, v76, v6
	v_dot2acc_f32_f16 v0, v77, v7
	s_delay_alu instid0(VALU_DEP_1) | instskip(SKIP_1) | instid1(VALU_DEP_1)
	v_add_f32_e32 v48, v0, v108
	v_mov_b32_e32 v0, 0
	v_dot2acc_f32_f16 v0, v16, v4
	s_delay_alu instid0(VALU_DEP_1) | instskip(NEXT) | instid1(VALU_DEP_1)
	v_dot2acc_f32_f16 v0, v17, v5
	v_dot2acc_f32_f16 v0, v18, v6
	s_delay_alu instid0(VALU_DEP_1) | instskip(NEXT) | instid1(VALU_DEP_1)
	v_dot2acc_f32_f16 v0, v19, v7
	v_dual_add_f32 v47, v0, v109 :: v_dual_mov_b32 v0, 0
	s_delay_alu instid0(VALU_DEP_1) | instskip(SKIP_1) | instid1(VALU_DEP_2)
	v_dot2acc_f32_f16 v0, v14, v4
	v_mov_b32_e32 v4, 0
	v_dot2acc_f32_f16 v0, v12, v5
	s_delay_alu instid0(VALU_DEP_1) | instskip(NEXT) | instid1(VALU_DEP_1)
	v_dot2acc_f32_f16 v0, v10, v6
	v_dot2acc_f32_f16 v0, v9, v7
	s_delay_alu instid0(VALU_DEP_1) | instskip(SKIP_3) | instid1(VALU_DEP_1)
	v_add_f32_e32 v46, v0, v110
	ds_load_b128 v[0:3], v45 offset:576
	s_waitcnt lgkmcnt(0)
	v_dot2acc_f32_f16 v4, v78, v0
	v_dot2acc_f32_f16 v4, v79, v1
	s_delay_alu instid0(VALU_DEP_1) | instskip(NEXT) | instid1(VALU_DEP_1)
	v_dot2acc_f32_f16 v4, v80, v2
	v_dot2acc_f32_f16 v4, v81, v3
	s_delay_alu instid0(VALU_DEP_1) | instskip(NEXT) | instid1(VALU_DEP_1)
	v_dual_add_f32 v53, v50, v4 :: v_dual_mov_b32 v4, 0
	v_dot2acc_f32_f16 v4, v74, v0
	s_delay_alu instid0(VALU_DEP_1) | instskip(NEXT) | instid1(VALU_DEP_1)
	v_dot2acc_f32_f16 v4, v75, v1
	v_dot2acc_f32_f16 v4, v76, v2
	s_delay_alu instid0(VALU_DEP_1) | instskip(NEXT) | instid1(VALU_DEP_1)
	v_dot2acc_f32_f16 v4, v77, v3
	v_add_f32_e32 v52, v4, v51
	v_mov_b32_e32 v4, 0
	s_delay_alu instid0(VALU_DEP_1) | instskip(NEXT) | instid1(VALU_DEP_1)
	v_dot2acc_f32_f16 v4, v16, v0
	v_dot2acc_f32_f16 v4, v17, v1
	s_delay_alu instid0(VALU_DEP_1) | instskip(NEXT) | instid1(VALU_DEP_1)
	v_dot2acc_f32_f16 v4, v18, v2
	v_dot2acc_f32_f16 v4, v19, v3
	s_delay_alu instid0(VALU_DEP_1) | instskip(NEXT) | instid1(VALU_DEP_1)
	v_dual_add_f32 v51, v4, v56 :: v_dual_mov_b32 v4, 0
	v_dot2acc_f32_f16 v4, v14, v0
	s_delay_alu instid0(VALU_DEP_1) | instskip(NEXT) | instid1(VALU_DEP_1)
	v_dot2acc_f32_f16 v4, v12, v1
	v_dot2acc_f32_f16 v4, v10, v2
	s_delay_alu instid0(VALU_DEP_1) | instskip(SKIP_4) | instid1(VALU_DEP_1)
	v_dot2acc_f32_f16 v4, v9, v3
	ds_load_b128 v[0:3], v45 offset:1104
	v_add_f32_e32 v50, v4, v57
	v_mov_b32_e32 v4, 0
	s_waitcnt lgkmcnt(0)
	v_dot2acc_f32_f16 v4, v78, v0
	s_delay_alu instid0(VALU_DEP_1) | instskip(NEXT) | instid1(VALU_DEP_1)
	v_dot2acc_f32_f16 v4, v79, v1
	v_dot2acc_f32_f16 v4, v80, v2
	s_delay_alu instid0(VALU_DEP_1) | instskip(NEXT) | instid1(VALU_DEP_1)
	v_dot2acc_f32_f16 v4, v81, v3
	v_dual_add_f32 v57, v54, v4 :: v_dual_mov_b32 v4, 0
	s_delay_alu instid0(VALU_DEP_1) | instskip(NEXT) | instid1(VALU_DEP_1)
	v_dot2acc_f32_f16 v4, v74, v0
	v_dot2acc_f32_f16 v4, v75, v1
	s_delay_alu instid0(VALU_DEP_1) | instskip(NEXT) | instid1(VALU_DEP_1)
	v_dot2acc_f32_f16 v4, v76, v2
	v_dot2acc_f32_f16 v4, v77, v3
	s_delay_alu instid0(VALU_DEP_1) | instskip(SKIP_1) | instid1(VALU_DEP_1)
	v_add_f32_e32 v56, v4, v55
	v_mov_b32_e32 v4, 0
	v_dot2acc_f32_f16 v4, v16, v0
	s_delay_alu instid0(VALU_DEP_1) | instskip(NEXT) | instid1(VALU_DEP_1)
	v_dot2acc_f32_f16 v4, v17, v1
	v_dot2acc_f32_f16 v4, v18, v2
	s_delay_alu instid0(VALU_DEP_1) | instskip(NEXT) | instid1(VALU_DEP_1)
	v_dot2acc_f32_f16 v4, v19, v3
	v_dual_add_f32 v55, v4, v60 :: v_dual_mov_b32 v4, 0
	s_delay_alu instid0(VALU_DEP_1) | instskip(NEXT) | instid1(VALU_DEP_1)
	v_dot2acc_f32_f16 v4, v14, v0
	v_dot2acc_f32_f16 v4, v12, v1
	s_delay_alu instid0(VALU_DEP_1) | instskip(NEXT) | instid1(VALU_DEP_1)
	v_dot2acc_f32_f16 v4, v10, v2
	v_dot2acc_f32_f16 v4, v9, v3
	ds_load_b128 v[0:3], v45 offset:1632
	v_add_f32_e32 v54, v4, v61
	v_mov_b32_e32 v4, 0
	s_waitcnt lgkmcnt(0)
	s_delay_alu instid0(VALU_DEP_1) | instskip(NEXT) | instid1(VALU_DEP_1)
	v_dot2acc_f32_f16 v4, v78, v0
	v_dot2acc_f32_f16 v4, v79, v1
	s_delay_alu instid0(VALU_DEP_1) | instskip(NEXT) | instid1(VALU_DEP_1)
	v_dot2acc_f32_f16 v4, v80, v2
	v_dot2acc_f32_f16 v4, v81, v3
	s_delay_alu instid0(VALU_DEP_1) | instskip(NEXT) | instid1(VALU_DEP_1)
	v_dual_add_f32 v61, v58, v4 :: v_dual_mov_b32 v4, 0
	v_dot2acc_f32_f16 v4, v74, v0
	s_delay_alu instid0(VALU_DEP_1) | instskip(NEXT) | instid1(VALU_DEP_1)
	v_dot2acc_f32_f16 v4, v75, v1
	v_dot2acc_f32_f16 v4, v76, v2
	s_delay_alu instid0(VALU_DEP_1) | instskip(NEXT) | instid1(VALU_DEP_1)
	v_dot2acc_f32_f16 v4, v77, v3
	v_add_f32_e32 v60, v4, v59
	v_mov_b32_e32 v4, 0
	s_delay_alu instid0(VALU_DEP_1) | instskip(NEXT) | instid1(VALU_DEP_1)
	v_dot2acc_f32_f16 v4, v16, v0
	v_dot2acc_f32_f16 v4, v17, v1
	s_delay_alu instid0(VALU_DEP_1) | instskip(NEXT) | instid1(VALU_DEP_1)
	v_dot2acc_f32_f16 v4, v18, v2
	v_dot2acc_f32_f16 v4, v19, v3
	s_delay_alu instid0(VALU_DEP_1) | instskip(NEXT) | instid1(VALU_DEP_1)
	v_dual_add_f32 v59, v4, v64 :: v_dual_mov_b32 v4, 0
	v_dot2acc_f32_f16 v4, v14, v0
	s_delay_alu instid0(VALU_DEP_1) | instskip(NEXT) | instid1(VALU_DEP_1)
	v_dot2acc_f32_f16 v4, v12, v1
	v_dot2acc_f32_f16 v4, v10, v2
	s_delay_alu instid0(VALU_DEP_1) | instskip(SKIP_4) | instid1(VALU_DEP_1)
	v_dot2acc_f32_f16 v4, v9, v3
	ds_load_b128 v[0:3], v45 offset:2160
	v_add_f32_e32 v58, v4, v65
	v_mov_b32_e32 v4, 0
	s_waitcnt lgkmcnt(0)
	v_dot2acc_f32_f16 v4, v78, v0
	s_delay_alu instid0(VALU_DEP_1) | instskip(NEXT) | instid1(VALU_DEP_1)
	v_dot2acc_f32_f16 v4, v79, v1
	v_dot2acc_f32_f16 v4, v80, v2
	s_delay_alu instid0(VALU_DEP_1) | instskip(NEXT) | instid1(VALU_DEP_1)
	v_dot2acc_f32_f16 v4, v81, v3
	v_dual_add_f32 v65, v62, v4 :: v_dual_mov_b32 v4, 0
	s_delay_alu instid0(VALU_DEP_1) | instskip(NEXT) | instid1(VALU_DEP_1)
	v_dot2acc_f32_f16 v4, v74, v0
	v_dot2acc_f32_f16 v4, v75, v1
	s_delay_alu instid0(VALU_DEP_1) | instskip(NEXT) | instid1(VALU_DEP_1)
	v_dot2acc_f32_f16 v4, v76, v2
	v_dot2acc_f32_f16 v4, v77, v3
	s_delay_alu instid0(VALU_DEP_1) | instskip(SKIP_1) | instid1(VALU_DEP_1)
	v_add_f32_e32 v64, v4, v63
	v_mov_b32_e32 v4, 0
	v_dot2acc_f32_f16 v4, v16, v0
	s_delay_alu instid0(VALU_DEP_1) | instskip(NEXT) | instid1(VALU_DEP_1)
	v_dot2acc_f32_f16 v4, v17, v1
	v_dot2acc_f32_f16 v4, v18, v2
	s_delay_alu instid0(VALU_DEP_1) | instskip(NEXT) | instid1(VALU_DEP_1)
	v_dot2acc_f32_f16 v4, v19, v3
	v_dual_add_f32 v63, v4, v68 :: v_dual_mov_b32 v4, 0
	s_delay_alu instid0(VALU_DEP_1) | instskip(NEXT) | instid1(VALU_DEP_1)
	v_dot2acc_f32_f16 v4, v14, v0
	v_dot2acc_f32_f16 v4, v12, v1
	s_delay_alu instid0(VALU_DEP_1) | instskip(NEXT) | instid1(VALU_DEP_1)
	v_dot2acc_f32_f16 v4, v10, v2
	v_dot2acc_f32_f16 v4, v9, v3
	ds_load_b128 v[0:3], v45 offset:2688
	v_add_f32_e32 v62, v4, v69
	v_mov_b32_e32 v4, 0
	s_waitcnt lgkmcnt(0)
	s_delay_alu instid0(VALU_DEP_1) | instskip(NEXT) | instid1(VALU_DEP_1)
	v_dot2acc_f32_f16 v4, v78, v0
	v_dot2acc_f32_f16 v4, v79, v1
	s_delay_alu instid0(VALU_DEP_1) | instskip(NEXT) | instid1(VALU_DEP_1)
	v_dot2acc_f32_f16 v4, v80, v2
	v_dot2acc_f32_f16 v4, v81, v3
	s_delay_alu instid0(VALU_DEP_1) | instskip(NEXT) | instid1(VALU_DEP_1)
	v_dual_add_f32 v69, v66, v4 :: v_dual_mov_b32 v4, 0
	v_dot2acc_f32_f16 v4, v74, v0
	s_delay_alu instid0(VALU_DEP_1) | instskip(NEXT) | instid1(VALU_DEP_1)
	v_dot2acc_f32_f16 v4, v75, v1
	v_dot2acc_f32_f16 v4, v76, v2
	s_delay_alu instid0(VALU_DEP_1) | instskip(NEXT) | instid1(VALU_DEP_1)
	v_dot2acc_f32_f16 v4, v77, v3
	v_add_f32_e32 v68, v4, v67
	v_mov_b32_e32 v4, 0
	s_delay_alu instid0(VALU_DEP_1) | instskip(NEXT) | instid1(VALU_DEP_1)
	v_dot2acc_f32_f16 v4, v16, v0
	v_dot2acc_f32_f16 v4, v17, v1
	s_delay_alu instid0(VALU_DEP_1) | instskip(NEXT) | instid1(VALU_DEP_1)
	v_dot2acc_f32_f16 v4, v18, v2
	v_dot2acc_f32_f16 v4, v19, v3
	s_delay_alu instid0(VALU_DEP_1) | instskip(NEXT) | instid1(VALU_DEP_1)
	v_dual_add_f32 v67, v4, v72 :: v_dual_mov_b32 v4, 0
	v_dot2acc_f32_f16 v4, v14, v0
	s_delay_alu instid0(VALU_DEP_1) | instskip(NEXT) | instid1(VALU_DEP_1)
	v_dot2acc_f32_f16 v4, v12, v1
	v_dot2acc_f32_f16 v4, v10, v2
	s_delay_alu instid0(VALU_DEP_1) | instskip(SKIP_4) | instid1(VALU_DEP_1)
	v_dot2acc_f32_f16 v4, v9, v3
	ds_load_b128 v[0:3], v45 offset:3216
	v_add_f32_e32 v66, v4, v73
	v_mov_b32_e32 v4, 0
	s_waitcnt lgkmcnt(0)
	v_dot2acc_f32_f16 v4, v78, v0
	s_delay_alu instid0(VALU_DEP_1) | instskip(NEXT) | instid1(VALU_DEP_1)
	v_dot2acc_f32_f16 v4, v79, v1
	v_dot2acc_f32_f16 v4, v80, v2
	s_delay_alu instid0(VALU_DEP_1) | instskip(NEXT) | instid1(VALU_DEP_1)
	v_dot2acc_f32_f16 v4, v81, v3
	v_dual_add_f32 v73, v70, v4 :: v_dual_mov_b32 v4, 0
	s_delay_alu instid0(VALU_DEP_1) | instskip(NEXT) | instid1(VALU_DEP_1)
	v_dot2acc_f32_f16 v4, v74, v0
	v_dot2acc_f32_f16 v4, v75, v1
	s_delay_alu instid0(VALU_DEP_1) | instskip(NEXT) | instid1(VALU_DEP_1)
	v_dot2acc_f32_f16 v4, v76, v2
	v_dot2acc_f32_f16 v4, v77, v3
	s_delay_alu instid0(VALU_DEP_1) | instskip(SKIP_1) | instid1(VALU_DEP_1)
	v_add_f32_e32 v72, v4, v71
	v_mov_b32_e32 v4, 0
	v_dot2acc_f32_f16 v4, v16, v0
	s_delay_alu instid0(VALU_DEP_1) | instskip(NEXT) | instid1(VALU_DEP_1)
	v_dot2acc_f32_f16 v4, v17, v1
	v_dot2acc_f32_f16 v4, v18, v2
	s_delay_alu instid0(VALU_DEP_1) | instskip(NEXT) | instid1(VALU_DEP_1)
	v_dot2acc_f32_f16 v4, v19, v3
	v_dual_add_f32 v71, v4, v82 :: v_dual_mov_b32 v4, 0
	s_delay_alu instid0(VALU_DEP_1) | instskip(NEXT) | instid1(VALU_DEP_1)
	v_dot2acc_f32_f16 v4, v14, v0
	v_dot2acc_f32_f16 v4, v12, v1
	s_delay_alu instid0(VALU_DEP_1) | instskip(NEXT) | instid1(VALU_DEP_1)
	v_dot2acc_f32_f16 v4, v10, v2
	v_dot2acc_f32_f16 v4, v9, v3
	ds_load_b128 v[0:3], v45 offset:3744
	v_add_f32_e32 v70, v4, v83
	v_mov_b32_e32 v4, 0
	s_waitcnt lgkmcnt(0)
	s_delay_alu instid0(VALU_DEP_1) | instskip(NEXT) | instid1(VALU_DEP_1)
	v_dot2acc_f32_f16 v4, v78, v0
	v_dot2acc_f32_f16 v4, v79, v1
	s_delay_alu instid0(VALU_DEP_1) | instskip(NEXT) | instid1(VALU_DEP_1)
	v_dot2acc_f32_f16 v4, v80, v2
	v_dot2acc_f32_f16 v4, v81, v3
	s_delay_alu instid0(VALU_DEP_1) | instskip(SKIP_1) | instid1(VALU_DEP_1)
	v_add_f32_e32 v78, v15, v4
	v_mov_b32_e32 v4, 0
	v_dot2acc_f32_f16 v4, v74, v0
	s_delay_alu instid0(VALU_DEP_1) | instskip(NEXT) | instid1(VALU_DEP_1)
	v_dot2acc_f32_f16 v4, v75, v1
	v_dot2acc_f32_f16 v4, v76, v2
	s_delay_alu instid0(VALU_DEP_1) | instskip(NEXT) | instid1(VALU_DEP_1)
	v_dot2acc_f32_f16 v4, v77, v3
	v_add_f32_e32 v74, v4, v13
	v_mov_b32_e32 v4, 0
	s_delay_alu instid0(VALU_DEP_1) | instskip(NEXT) | instid1(VALU_DEP_1)
	v_dot2acc_f32_f16 v4, v16, v0
	v_dot2acc_f32_f16 v4, v17, v1
	s_delay_alu instid0(VALU_DEP_1) | instskip(NEXT) | instid1(VALU_DEP_1)
	v_dot2acc_f32_f16 v4, v18, v2
	v_dot2acc_f32_f16 v4, v19, v3
	s_delay_alu instid0(VALU_DEP_1) | instskip(NEXT) | instid1(VALU_DEP_1)
	v_dual_add_f32 v75, v4, v11 :: v_dual_mov_b32 v4, 0
	v_dot2acc_f32_f16 v4, v14, v0
	s_delay_alu instid0(VALU_DEP_1) | instskip(NEXT) | instid1(VALU_DEP_1)
	v_dot2acc_f32_f16 v4, v12, v1
	v_dot2acc_f32_f16 v4, v10, v2
	s_delay_alu instid0(VALU_DEP_1) | instskip(NEXT) | instid1(VALU_DEP_1)
	v_dot2acc_f32_f16 v4, v9, v3
	v_add_f32_e32 v76, v4, v8
	s_cbranch_scc1 .LBB3_40
.LBB3_38:                               ; =>This Inner Loop Header: Depth=1
	s_cmp_lg_u32 s15, s4
	s_cbranch_scc1 .LBB3_37
; %bb.39:                               ;   in Loop: Header=BB3_38 Depth=1
	s_add_i32 s14, s14, 1
	s_add_i32 s4, s4, s10
	s_mul_i32 s18, s14, s11
	s_mul_i32 s22, s14, s9
	s_ashr_i32 s19, s18, 31
	s_ashr_i32 s23, s22, 31
	s_lshl_b64 s[18:19], s[18:19], 2
	s_delay_alu instid0(SALU_CYCLE_1) | instskip(SKIP_2) | instid1(SALU_CYCLE_1)
	v_add_co_u32 v0, vcc_lo, v27, s18
	v_add_co_ci_u32_e32 v1, vcc_lo, s19, v28, vcc_lo
	s_lshl_b64 s[18:19], s[22:23], 1
	v_add_co_u32 v2, vcc_lo, v24, s18
	v_add_co_ci_u32_e32 v3, vcc_lo, s19, v25, vcc_lo
	global_load_b32 v4, v[0:1], off
	global_load_b64 v[0:1], v[2:3], off
	s_waitcnt vmcnt(1)
	v_lshrrev_b32_e32 v2, v26, v4
	v_bfe_u32 v3, v4, v26, 4
	s_waitcnt vmcnt(0)
	v_alignbit_b32 v4, s0, v0, 16
	v_alignbit_b32 v5, s0, v1, 16
	v_perm_b32 v29, v0, v0, 0x5040100
	v_bfe_u32 v6, v2, 4, 4
	v_add_nc_u32_e32 v3, s20, v3
	v_bfe_u32 v7, v2, 8, 4
	v_bfe_u32 v2, v2, 12, 4
	v_pk_mul_f16 v31, 0x2c00, v0 op_sel_hi:[0,0]
	v_add_nc_u32_e32 v6, s20, v6
	v_cvt_f32_i32_e32 v8, v3
	v_or_b32_e32 v3, 0xffffe400, v3
	v_add_nc_u32_e32 v7, s20, v7
	v_add_nc_u32_e32 v2, s20, v2
	v_or_b32_e32 v9, 0xffffe400, v6
	v_cvt_f32_i32_e32 v6, v6
	v_pk_mul_f16 v3, v0, v3
	v_or_b32_e32 v10, 0xffffe400, v7
	v_cvt_f32_i32_e32 v7, v7
	v_or_b32_e32 v11, 0xffffe400, v2
	v_cvt_f32_i32_e32 v2, v2
	v_cvt_f16_f32_e32 v8, v8
	v_pack_b32_f16 v37, v3, v3
	v_cvt_f16_f32_e32 v3, v6
	v_cvt_f16_f32_e32 v7, v7
	;; [unrolled: 1-line block ×3, first 2 shown]
	v_sub_f16_e32 v8, 0xd400, v8
	v_perm_b32 v30, v0, v0, 0x7060302
	v_sub_f16_e32 v3, 0xd400, v3
	v_sub_f16_e32 v7, 0xd400, v7
	;; [unrolled: 1-line block ×3, first 2 shown]
	v_pk_mul_f16 v32, 0x2c00, v0 op_sel:[0,1] op_sel_hi:[0,1]
	v_pk_mul_f16 v6, v4, v9
	v_pk_mul_f16 v9, v1, v10
	;; [unrolled: 1-line block ×7, first 2 shown]
	v_perm_b32 v33, v1, v1, 0x5040100
	v_pk_mul_f16 v34, 0x2c00, v1 op_sel_hi:[0,0]
	v_perm_b32 v35, v1, v1, 0x7060302
	v_pack_b32_f16 v40, v6, v6
	v_pack_b32_f16 v38, v9, v9
	;; [unrolled: 1-line block ×7, first 2 shown]
	v_pk_mul_f16 v36, 0x2c00, v1 op_sel:[0,1] op_sel_hi:[0,1]
	s_branch .LBB3_37
.LBB3_40:
	v_add_co_u32 v6, vcc_lo, s6, v20
	v_add_co_ci_u32_e32 v7, vcc_lo, s7, v21, vcc_lo
	s_cmp_lt_i32 s12, s8
	s_cbranch_scc1 .LBB3_48
; %bb.41:
	s_or_b32 s0, s12, 1
	s_delay_alu instid0(SALU_CYCLE_1)
	s_cmp_ge_i32 s0, s8
	s_cbranch_scc0 .LBB3_51
.LBB3_42:
	s_or_b32 s0, s12, 2
	s_delay_alu instid0(SALU_CYCLE_1)
	s_cmp_ge_i32 s0, s8
	s_cbranch_scc0 .LBB3_54
.LBB3_43:
	s_or_b32 s0, s12, 3
	s_delay_alu instid0(SALU_CYCLE_1)
	s_cmp_ge_i32 s0, s8
	s_cbranch_scc0 .LBB3_57
.LBB3_44:
	s_or_b32 s0, s12, 4
	s_delay_alu instid0(SALU_CYCLE_1)
	s_cmp_ge_i32 s0, s8
	s_cbranch_scc0 .LBB3_60
.LBB3_45:
	s_or_b32 s0, s12, 5
	s_delay_alu instid0(SALU_CYCLE_1)
	s_cmp_ge_i32 s0, s8
	s_cbranch_scc0 .LBB3_63
.LBB3_46:
	s_or_b32 s0, s12, 6
	s_delay_alu instid0(SALU_CYCLE_1)
	s_cmp_ge_i32 s0, s8
	s_cbranch_scc0 .LBB3_66
.LBB3_47:
	s_or_b32 s0, s12, 7
	s_delay_alu instid0(SALU_CYCLE_1)
	s_cmp_ge_i32 s0, s8
	s_cbranch_scc0 .LBB3_69
	s_branch .LBB3_71
.LBB3_48:
	s_mul_i32 s0, s12, s9
	v_cvt_f16_f32_e32 v0, v49
	s_ashr_i32 s1, s0, 31
	v_cvt_f16_f32_e32 v1, v48
	s_lshl_b64 s[0:1], s[0:1], 1
	v_cvt_f16_f32_e32 v9, v47
	v_add_co_u32 v4, vcc_lo, v6, s0
	v_add_co_ci_u32_e32 v5, vcc_lo, s1, v7, vcc_lo
	v_cvt_f16_f32_e32 v10, v46
	v_pack_b32_f16 v8, v0, v1
	s_mov_b32 s0, 0
	global_load_b64 v[2:3], v[4:5], off
	v_pack_b32_f16 v9, v9, v10
.LBB3_49:                               ; =>This Inner Loop Header: Depth=1
	s_waitcnt vmcnt(0)
	v_pk_add_f16 v0, v8, v2
	s_delay_alu instid0(VALU_DEP_2)
	v_pk_add_f16 v1, v9, v3
	global_atomic_cmpswap_b64 v[0:1], v[4:5], v[0:3], off glc
	s_waitcnt vmcnt(0)
	v_cmp_eq_u64_e32 vcc_lo, v[0:1], v[2:3]
	v_dual_mov_b32 v3, v1 :: v_dual_mov_b32 v2, v0
	s_or_b32 s0, vcc_lo, s0
	s_delay_alu instid0(SALU_CYCLE_1)
	s_and_not1_b32 exec_lo, exec_lo, s0
	s_cbranch_execnz .LBB3_49
; %bb.50:
	s_or_b32 exec_lo, exec_lo, s0
	s_or_b32 s0, s12, 1
	s_delay_alu instid0(SALU_CYCLE_1)
	s_cmp_ge_i32 s0, s8
	s_cbranch_scc1 .LBB3_42
.LBB3_51:
	s_mul_i32 s0, s0, s9
	v_cvt_f16_f32_e32 v0, v53
	s_ashr_i32 s1, s0, 31
	v_cvt_f16_f32_e32 v1, v52
	s_lshl_b64 s[0:1], s[0:1], 1
	v_cvt_f16_f32_e32 v9, v51
	v_add_co_u32 v4, vcc_lo, v6, s0
	v_add_co_ci_u32_e32 v5, vcc_lo, s1, v7, vcc_lo
	v_cvt_f16_f32_e32 v10, v50
	v_pack_b32_f16 v8, v0, v1
	s_mov_b32 s0, 0
	global_load_b64 v[2:3], v[4:5], off
	v_pack_b32_f16 v9, v9, v10
.LBB3_52:                               ; =>This Inner Loop Header: Depth=1
	s_waitcnt vmcnt(0)
	v_pk_add_f16 v0, v8, v2
	s_delay_alu instid0(VALU_DEP_2)
	v_pk_add_f16 v1, v9, v3
	global_atomic_cmpswap_b64 v[0:1], v[4:5], v[0:3], off glc
	s_waitcnt vmcnt(0)
	v_cmp_eq_u64_e32 vcc_lo, v[0:1], v[2:3]
	v_dual_mov_b32 v3, v1 :: v_dual_mov_b32 v2, v0
	s_or_b32 s0, vcc_lo, s0
	s_delay_alu instid0(SALU_CYCLE_1)
	s_and_not1_b32 exec_lo, exec_lo, s0
	s_cbranch_execnz .LBB3_52
; %bb.53:
	s_or_b32 exec_lo, exec_lo, s0
	s_or_b32 s0, s12, 2
	s_delay_alu instid0(SALU_CYCLE_1)
	s_cmp_ge_i32 s0, s8
	s_cbranch_scc1 .LBB3_43
.LBB3_54:
	s_mul_i32 s0, s0, s9
	v_cvt_f16_f32_e32 v0, v57
	s_ashr_i32 s1, s0, 31
	v_cvt_f16_f32_e32 v1, v56
	s_lshl_b64 s[0:1], s[0:1], 1
	v_cvt_f16_f32_e32 v9, v55
	v_add_co_u32 v4, vcc_lo, v6, s0
	v_add_co_ci_u32_e32 v5, vcc_lo, s1, v7, vcc_lo
	v_cvt_f16_f32_e32 v10, v54
	v_pack_b32_f16 v8, v0, v1
	s_mov_b32 s0, 0
	global_load_b64 v[2:3], v[4:5], off
	v_pack_b32_f16 v9, v9, v10
.LBB3_55:                               ; =>This Inner Loop Header: Depth=1
	s_waitcnt vmcnt(0)
	v_pk_add_f16 v0, v8, v2
	s_delay_alu instid0(VALU_DEP_2)
	v_pk_add_f16 v1, v9, v3
	global_atomic_cmpswap_b64 v[0:1], v[4:5], v[0:3], off glc
	s_waitcnt vmcnt(0)
	v_cmp_eq_u64_e32 vcc_lo, v[0:1], v[2:3]
	v_dual_mov_b32 v3, v1 :: v_dual_mov_b32 v2, v0
	s_or_b32 s0, vcc_lo, s0
	s_delay_alu instid0(SALU_CYCLE_1)
	s_and_not1_b32 exec_lo, exec_lo, s0
	s_cbranch_execnz .LBB3_55
; %bb.56:
	s_or_b32 exec_lo, exec_lo, s0
	s_or_b32 s0, s12, 3
	s_delay_alu instid0(SALU_CYCLE_1)
	s_cmp_ge_i32 s0, s8
	s_cbranch_scc1 .LBB3_44
.LBB3_57:
	s_mul_i32 s0, s0, s9
	v_cvt_f16_f32_e32 v0, v61
	s_ashr_i32 s1, s0, 31
	v_cvt_f16_f32_e32 v1, v60
	s_lshl_b64 s[0:1], s[0:1], 1
	v_cvt_f16_f32_e32 v9, v59
	v_add_co_u32 v4, vcc_lo, v6, s0
	v_add_co_ci_u32_e32 v5, vcc_lo, s1, v7, vcc_lo
	v_cvt_f16_f32_e32 v10, v58
	v_pack_b32_f16 v8, v0, v1
	s_mov_b32 s0, 0
	global_load_b64 v[2:3], v[4:5], off
	v_pack_b32_f16 v9, v9, v10
.LBB3_58:                               ; =>This Inner Loop Header: Depth=1
	s_waitcnt vmcnt(0)
	v_pk_add_f16 v0, v8, v2
	s_delay_alu instid0(VALU_DEP_2)
	v_pk_add_f16 v1, v9, v3
	global_atomic_cmpswap_b64 v[0:1], v[4:5], v[0:3], off glc
	s_waitcnt vmcnt(0)
	v_cmp_eq_u64_e32 vcc_lo, v[0:1], v[2:3]
	v_dual_mov_b32 v3, v1 :: v_dual_mov_b32 v2, v0
	s_or_b32 s0, vcc_lo, s0
	s_delay_alu instid0(SALU_CYCLE_1)
	s_and_not1_b32 exec_lo, exec_lo, s0
	s_cbranch_execnz .LBB3_58
; %bb.59:
	s_or_b32 exec_lo, exec_lo, s0
	s_or_b32 s0, s12, 4
	s_delay_alu instid0(SALU_CYCLE_1)
	s_cmp_ge_i32 s0, s8
	s_cbranch_scc1 .LBB3_45
.LBB3_60:
	s_mul_i32 s0, s0, s9
	v_cvt_f16_f32_e32 v0, v65
	s_ashr_i32 s1, s0, 31
	v_cvt_f16_f32_e32 v1, v64
	s_lshl_b64 s[0:1], s[0:1], 1
	v_cvt_f16_f32_e32 v9, v63
	v_add_co_u32 v4, vcc_lo, v6, s0
	v_add_co_ci_u32_e32 v5, vcc_lo, s1, v7, vcc_lo
	v_cvt_f16_f32_e32 v10, v62
	v_pack_b32_f16 v8, v0, v1
	s_mov_b32 s0, 0
	global_load_b64 v[2:3], v[4:5], off
	v_pack_b32_f16 v9, v9, v10
.LBB3_61:                               ; =>This Inner Loop Header: Depth=1
	s_waitcnt vmcnt(0)
	v_pk_add_f16 v0, v8, v2
	s_delay_alu instid0(VALU_DEP_2)
	v_pk_add_f16 v1, v9, v3
	global_atomic_cmpswap_b64 v[0:1], v[4:5], v[0:3], off glc
	s_waitcnt vmcnt(0)
	v_cmp_eq_u64_e32 vcc_lo, v[0:1], v[2:3]
	v_dual_mov_b32 v3, v1 :: v_dual_mov_b32 v2, v0
	s_or_b32 s0, vcc_lo, s0
	s_delay_alu instid0(SALU_CYCLE_1)
	s_and_not1_b32 exec_lo, exec_lo, s0
	s_cbranch_execnz .LBB3_61
; %bb.62:
	s_or_b32 exec_lo, exec_lo, s0
	s_or_b32 s0, s12, 5
	s_delay_alu instid0(SALU_CYCLE_1)
	s_cmp_ge_i32 s0, s8
	s_cbranch_scc1 .LBB3_46
.LBB3_63:
	s_mul_i32 s0, s0, s9
	v_cvt_f16_f32_e32 v0, v69
	s_ashr_i32 s1, s0, 31
	v_cvt_f16_f32_e32 v1, v68
	s_lshl_b64 s[0:1], s[0:1], 1
	v_cvt_f16_f32_e32 v9, v67
	v_add_co_u32 v4, vcc_lo, v6, s0
	v_add_co_ci_u32_e32 v5, vcc_lo, s1, v7, vcc_lo
	v_cvt_f16_f32_e32 v10, v66
	v_pack_b32_f16 v8, v0, v1
	s_mov_b32 s0, 0
	global_load_b64 v[2:3], v[4:5], off
	v_pack_b32_f16 v9, v9, v10
.LBB3_64:                               ; =>This Inner Loop Header: Depth=1
	s_waitcnt vmcnt(0)
	v_pk_add_f16 v0, v8, v2
	s_delay_alu instid0(VALU_DEP_2)
	v_pk_add_f16 v1, v9, v3
	global_atomic_cmpswap_b64 v[0:1], v[4:5], v[0:3], off glc
	s_waitcnt vmcnt(0)
	v_cmp_eq_u64_e32 vcc_lo, v[0:1], v[2:3]
	v_dual_mov_b32 v3, v1 :: v_dual_mov_b32 v2, v0
	s_or_b32 s0, vcc_lo, s0
	s_delay_alu instid0(SALU_CYCLE_1)
	s_and_not1_b32 exec_lo, exec_lo, s0
	s_cbranch_execnz .LBB3_64
; %bb.65:
	s_or_b32 exec_lo, exec_lo, s0
	s_or_b32 s0, s12, 6
	s_delay_alu instid0(SALU_CYCLE_1)
	s_cmp_ge_i32 s0, s8
	s_cbranch_scc1 .LBB3_47
.LBB3_66:
	s_mul_i32 s0, s0, s9
	v_cvt_f16_f32_e32 v0, v73
	s_ashr_i32 s1, s0, 31
	v_cvt_f16_f32_e32 v1, v72
	s_lshl_b64 s[0:1], s[0:1], 1
	v_cvt_f16_f32_e32 v9, v71
	v_add_co_u32 v4, vcc_lo, v6, s0
	v_add_co_ci_u32_e32 v5, vcc_lo, s1, v7, vcc_lo
	v_cvt_f16_f32_e32 v10, v70
	v_pack_b32_f16 v8, v0, v1
	s_mov_b32 s0, 0
	global_load_b64 v[2:3], v[4:5], off
	v_pack_b32_f16 v9, v9, v10
.LBB3_67:                               ; =>This Inner Loop Header: Depth=1
	s_waitcnt vmcnt(0)
	v_pk_add_f16 v0, v8, v2
	s_delay_alu instid0(VALU_DEP_2)
	v_pk_add_f16 v1, v9, v3
	global_atomic_cmpswap_b64 v[0:1], v[4:5], v[0:3], off glc
	s_waitcnt vmcnt(0)
	v_cmp_eq_u64_e32 vcc_lo, v[0:1], v[2:3]
	v_dual_mov_b32 v3, v1 :: v_dual_mov_b32 v2, v0
	s_or_b32 s0, vcc_lo, s0
	s_delay_alu instid0(SALU_CYCLE_1)
	s_and_not1_b32 exec_lo, exec_lo, s0
	s_cbranch_execnz .LBB3_67
; %bb.68:
	s_or_b32 exec_lo, exec_lo, s0
	s_or_b32 s0, s12, 7
	s_delay_alu instid0(SALU_CYCLE_1)
	s_cmp_ge_i32 s0, s8
	s_cbranch_scc1 .LBB3_71
.LBB3_69:
	s_mul_i32 s0, s0, s9
	v_cvt_f16_f32_e32 v0, v78
	s_ashr_i32 s1, s0, 31
	v_cvt_f16_f32_e32 v1, v74
	s_lshl_b64 s[0:1], s[0:1], 1
	v_cvt_f16_f32_e32 v8, v76
	v_add_co_u32 v4, vcc_lo, v6, s0
	v_add_co_ci_u32_e32 v5, vcc_lo, s1, v7, vcc_lo
	v_cvt_f16_f32_e32 v7, v75
	v_pack_b32_f16 v6, v0, v1
	s_mov_b32 s0, 0
	global_load_b64 v[2:3], v[4:5], off
	v_pack_b32_f16 v7, v7, v8
.LBB3_70:                               ; =>This Inner Loop Header: Depth=1
	s_waitcnt vmcnt(0)
	v_pk_add_f16 v0, v6, v2
	s_delay_alu instid0(VALU_DEP_2)
	v_pk_add_f16 v1, v7, v3
	global_atomic_cmpswap_b64 v[0:1], v[4:5], v[0:3], off glc
	s_waitcnt vmcnt(0)
	v_cmp_eq_u64_e32 vcc_lo, v[0:1], v[2:3]
	v_dual_mov_b32 v3, v1 :: v_dual_mov_b32 v2, v0
	s_or_b32 s0, vcc_lo, s0
	s_delay_alu instid0(SALU_CYCLE_1)
	s_and_not1_b32 exec_lo, exec_lo, s0
	s_cbranch_execnz .LBB3_70
.LBB3_71:
	s_endpgm
	.section	.rodata,"a",@progbits
	.p2align	6, 0x0
	.amdhsa_kernel _ZN4vllm10gptq_rdna320gemm_q4_kernel_rdna3I6__halfLi8EEEvPKT_PKjS7_S5_PS3_iiiiiPKi
		.amdhsa_group_segment_fixed_size 4224
		.amdhsa_private_segment_fixed_size 0
		.amdhsa_kernarg_size 72
		.amdhsa_user_sgpr_count 13
		.amdhsa_user_sgpr_dispatch_ptr 0
		.amdhsa_user_sgpr_queue_ptr 0
		.amdhsa_user_sgpr_kernarg_segment_ptr 1
		.amdhsa_user_sgpr_dispatch_id 0
		.amdhsa_user_sgpr_private_segment_size 0
		.amdhsa_wavefront_size32 1
		.amdhsa_uses_dynamic_stack 0
		.amdhsa_enable_private_segment 0
		.amdhsa_system_sgpr_workgroup_id_x 1
		.amdhsa_system_sgpr_workgroup_id_y 1
		.amdhsa_system_sgpr_workgroup_id_z 1
		.amdhsa_system_sgpr_workgroup_info 0
		.amdhsa_system_vgpr_workitem_id 0
		.amdhsa_next_free_vgpr 126
		.amdhsa_next_free_sgpr 24
		.amdhsa_reserve_vcc 1
		.amdhsa_float_round_mode_32 0
		.amdhsa_float_round_mode_16_64 0
		.amdhsa_float_denorm_mode_32 3
		.amdhsa_float_denorm_mode_16_64 3
		.amdhsa_dx10_clamp 1
		.amdhsa_ieee_mode 1
		.amdhsa_fp16_overflow 0
		.amdhsa_workgroup_processor_mode 1
		.amdhsa_memory_ordered 1
		.amdhsa_forward_progress 0
		.amdhsa_shared_vgpr_count 0
		.amdhsa_exception_fp_ieee_invalid_op 0
		.amdhsa_exception_fp_denorm_src 0
		.amdhsa_exception_fp_ieee_div_zero 0
		.amdhsa_exception_fp_ieee_overflow 0
		.amdhsa_exception_fp_ieee_underflow 0
		.amdhsa_exception_fp_ieee_inexact 0
		.amdhsa_exception_int_div_zero 0
	.end_amdhsa_kernel
	.section	.text._ZN4vllm10gptq_rdna320gemm_q4_kernel_rdna3I6__halfLi8EEEvPKT_PKjS7_S5_PS3_iiiiiPKi,"axG",@progbits,_ZN4vllm10gptq_rdna320gemm_q4_kernel_rdna3I6__halfLi8EEEvPKT_PKjS7_S5_PS3_iiiiiPKi,comdat
.Lfunc_end3:
	.size	_ZN4vllm10gptq_rdna320gemm_q4_kernel_rdna3I6__halfLi8EEEvPKT_PKjS7_S5_PS3_iiiiiPKi, .Lfunc_end3-_ZN4vllm10gptq_rdna320gemm_q4_kernel_rdna3I6__halfLi8EEEvPKT_PKjS7_S5_PS3_iiiiiPKi
                                        ; -- End function
	.section	.AMDGPU.csdata,"",@progbits
; Kernel info:
; codeLenInByte = 10332
; NumSgprs: 26
; NumVgprs: 126
; ScratchSize: 0
; MemoryBound: 0
; FloatMode: 240
; IeeeMode: 1
; LDSByteSize: 4224 bytes/workgroup (compile time only)
; SGPRBlocks: 3
; VGPRBlocks: 15
; NumSGPRsForWavesPerEU: 26
; NumVGPRsForWavesPerEU: 126
; Occupancy: 10
; WaveLimiterHint : 0
; COMPUTE_PGM_RSRC2:SCRATCH_EN: 0
; COMPUTE_PGM_RSRC2:USER_SGPR: 13
; COMPUTE_PGM_RSRC2:TRAP_HANDLER: 0
; COMPUTE_PGM_RSRC2:TGID_X_EN: 1
; COMPUTE_PGM_RSRC2:TGID_Y_EN: 1
; COMPUTE_PGM_RSRC2:TGID_Z_EN: 1
; COMPUTE_PGM_RSRC2:TIDIG_COMP_CNT: 0
	.section	.text._ZN4vllm10gptq_rdna320gemm_q4_kernel_rdna3I14__hip_bfloat16Li1EEEvPKT_PKjS7_S5_PS3_iiiiiPKi,"axG",@progbits,_ZN4vllm10gptq_rdna320gemm_q4_kernel_rdna3I14__hip_bfloat16Li1EEEvPKT_PKjS7_S5_PS3_iiiiiPKi,comdat
	.protected	_ZN4vllm10gptq_rdna320gemm_q4_kernel_rdna3I14__hip_bfloat16Li1EEEvPKT_PKjS7_S5_PS3_iiiiiPKi ; -- Begin function _ZN4vllm10gptq_rdna320gemm_q4_kernel_rdna3I14__hip_bfloat16Li1EEEvPKT_PKjS7_S5_PS3_iiiiiPKi
	.globl	_ZN4vllm10gptq_rdna320gemm_q4_kernel_rdna3I14__hip_bfloat16Li1EEEvPKT_PKjS7_S5_PS3_iiiiiPKi
	.p2align	8
	.type	_ZN4vllm10gptq_rdna320gemm_q4_kernel_rdna3I14__hip_bfloat16Li1EEEvPKT_PKjS7_S5_PS3_iiiiiPKi,@function
_ZN4vllm10gptq_rdna320gemm_q4_kernel_rdna3I14__hip_bfloat16Li1EEEvPKT_PKjS7_S5_PS3_iiiiiPKi: ; @_ZN4vllm10gptq_rdna320gemm_q4_kernel_rdna3I14__hip_bfloat16Li1EEEvPKT_PKjS7_S5_PS3_iiiiiPKi
; %bb.0:
	s_clause 0x3
	s_load_b128 s[4:7], s[2:3], 0x28
	s_load_b64 s[8:9], s[2:3], 0x40
	s_load_b64 s[16:17], s[2:3], 0x0
	s_load_b32 s18, s[2:3], 0x38
	s_lshl_b32 s12, s15, 8
	v_and_b32_e32 v3, 0x3ff, v0
	s_add_i32 s10, s12, 0x100
	s_waitcnt lgkmcnt(0)
	s_min_i32 s15, s10, s6
	s_cmp_eq_u64 s[8:9], 0
	s_cselect_b32 s19, -1, 0
	s_delay_alu instid0(SALU_CYCLE_1)
	s_and_b32 vcc_lo, exec_lo, s19
	s_cbranch_vccnz .LBB4_4
; %bb.1:
	v_add_nc_u32_e32 v1, s12, v3
	s_mov_b32 s10, exec_lo
	s_delay_alu instid0(VALU_DEP_1)
	v_cmpx_gt_i32_e64 s15, v1
	s_cbranch_execz .LBB4_3
; %bb.2:
	v_ashrrev_i32_e32 v2, 31, v1
	s_delay_alu instid0(VALU_DEP_1) | instskip(NEXT) | instid1(VALU_DEP_1)
	v_lshlrev_b64 v[1:2], 2, v[1:2]
	v_add_co_u32 v1, vcc_lo, s8, v1
	s_delay_alu instid0(VALU_DEP_2) | instskip(SKIP_3) | instid1(VALU_DEP_1)
	v_add_co_ci_u32_e32 v2, vcc_lo, s9, v2, vcc_lo
	global_load_b32 v1, v[1:2], off
	s_waitcnt vmcnt(0)
	v_mad_u64_u32 v[4:5], null, s14, s6, v[1:2]
	v_ashrrev_i32_e32 v5, 31, v4
	s_delay_alu instid0(VALU_DEP_1) | instskip(NEXT) | instid1(VALU_DEP_1)
	v_lshlrev_b64 v[1:2], 1, v[4:5]
	v_add_co_u32 v1, vcc_lo, s16, v1
	s_delay_alu instid0(VALU_DEP_2)
	v_add_co_ci_u32_e32 v2, vcc_lo, s17, v2, vcc_lo
	global_load_u16 v1, v[1:2], off
	v_lshlrev_b32_e32 v2, 1, v3
	s_waitcnt vmcnt(0)
	ds_store_b16 v2, v1
.LBB4_3:
	s_or_b32 exec_lo, exec_lo, s10
	s_waitcnt lgkmcnt(0)
	s_barrier
	buffer_gl0_inv
.LBB4_4:
	v_lshlrev_b32_e32 v1, 2, v3
	s_mov_b32 s8, exec_lo
	s_delay_alu instid0(VALU_DEP_1) | instskip(NEXT) | instid1(VALU_DEP_1)
	v_lshl_add_u32 v1, s13, 10, v1
	v_cmpx_gt_i32_e64 s5, v1
	s_cbranch_execz .LBB4_53
; %bb.5:
	s_abs_i32 s8, s7
	s_load_b64 s[0:1], s[0:1], 0x4
	v_cvt_f32_u32_e32 v2, s8
	s_sub_i32 s10, 0, s8
	s_abs_i32 s11, s6
	s_xor_b32 s7, s6, s7
	v_mov_b32_e32 v6, 0
	v_rcp_iflag_f32_e32 v2, v2
	s_ashr_i32 s7, s7, 31
	s_delay_alu instid0(VALU_DEP_1)
	v_mov_b32_e32 v8, v6
	v_mov_b32_e32 v9, v6
	s_waitcnt_depctr 0xfff
	v_dual_mov_b32 v7, v6 :: v_dual_mul_f32 v2, 0x4f7ffffe, v2
	s_waitcnt lgkmcnt(0)
	s_lshr_b32 s0, s0, 16
	s_delay_alu instid0(VALU_DEP_1) | instskip(NEXT) | instid1(VALU_DEP_1)
	v_cvt_u32_f32_e32 v2, v2
	v_readfirstlane_b32 s9, v2
	v_bfe_u32 v2, v0, 10, 10
	v_bfe_u32 v0, v0, 20, 10
	s_delay_alu instid0(VALU_DEP_3) | instskip(NEXT) | instid1(VALU_DEP_2)
	s_mul_i32 s10, s10, s9
	v_mul_u32_u24_e32 v2, s1, v2
	s_mul_hi_u32 s10, s9, s10
	s_delay_alu instid0(SALU_CYCLE_1) | instskip(NEXT) | instid1(SALU_CYCLE_1)
	s_add_i32 s9, s9, s10
	s_mul_hi_u32 s9, s11, s9
	s_delay_alu instid0(SALU_CYCLE_1) | instskip(NEXT) | instid1(SALU_CYCLE_1)
	s_mul_i32 s10, s9, s8
	s_sub_i32 s10, s11, s10
	s_add_i32 s11, s9, 1
	s_sub_i32 s13, s10, s8
	s_cmp_ge_u32 s10, s8
	s_cselect_b32 s9, s11, s9
	s_cselect_b32 s10, s13, s10
	s_add_i32 s11, s9, 1
	s_cmp_ge_u32 s10, s8
	s_cselect_b32 s8, s11, s9
	s_mul_i32 s9, s0, s1
	s_xor_b32 s8, s8, s7
	v_mul_lo_u32 v4, s9, v3
	s_sub_i32 s20, s8, s7
	s_delay_alu instid0(SALU_CYCLE_1) | instskip(SKIP_2) | instid1(VALU_DEP_2)
	s_abs_i32 s0, s20
	s_cmp_ge_i32 s12, s6
	v_cvt_f32_u32_e32 v5, s0
	v_add3_u32 v0, v4, v2, v0
	v_ashrrev_i32_e32 v2, 31, v1
	s_delay_alu instid0(VALU_DEP_3) | instskip(NEXT) | instid1(VALU_DEP_2)
	v_rcp_iflag_f32_e32 v5, v5
	v_lshlrev_b32_e32 v11, 4, v0
	s_delay_alu instid0(VALU_DEP_1) | instskip(SKIP_2) | instid1(VALU_DEP_1)
	v_add_nc_u32_e32 v10, 0x210, v11
	ds_store_b128 v11, v[6:9] offset:528
	v_mul_f32_e32 v4, 0x4f7ffffe, v5
	v_cvt_u32_f32_e32 v12, v4
	v_lshlrev_b64 v[4:5], 1, v[1:2]
	s_delay_alu instid0(VALU_DEP_2)
	v_readfirstlane_b32 s1, v12
	s_cbranch_scc1 .LBB4_18
; %bb.6:
	s_sub_i32 s6, 0, s0
	s_abs_i32 s7, s12
	s_delay_alu instid0(VALU_DEP_1)
	s_mul_i32 s6, s6, s1
	s_ashr_i32 s13, s12, 31
	s_mul_hi_u32 s6, s1, s6
	v_lshrrev_b32_e32 v6, 29, v2
	s_add_i32 s1, s1, s6
	s_ashr_i32 s6, s20, 31
	s_mul_hi_u32 s1, s7, s1
	s_xor_b32 s21, s13, s6
	s_mul_i32 s8, s1, s0
	v_add_nc_u32_e32 v6, v1, v6
	s_sub_i32 s6, s7, s8
	s_add_i32 s7, s1, 1
	s_sub_i32 s8, s6, s0
	s_cmp_ge_u32 s6, s0
	v_ashrrev_i32_e32 v6, 3, v6
	s_cselect_b32 s6, s8, s6
	s_load_b128 s[8:11], s[2:3], 0x8
	s_cselect_b32 s1, s7, s1
	v_lshl_add_u32 v11, v0, 4, 0x4210
	s_add_i32 s7, s1, 1
	s_cmp_ge_u32 s6, s0
	v_ashrrev_i32_e32 v7, 31, v6
	s_cselect_b32 s0, s7, s1
	s_load_b64 s[6:7], s[2:3], 0x18
	s_ashr_i32 s1, s5, 31
	s_xor_b32 s0, s0, s21
	s_lshr_b32 s22, s1, 29
	s_sub_i32 s21, s0, s21
	s_add_i32 s22, s5, s22
	v_lshlrev_b64 v[6:7], 2, v[6:7]
	s_ashr_i32 s22, s22, 3
	s_mul_i32 s26, s21, s5
	s_mul_i32 s24, s21, s22
	v_lshlrev_b64 v[0:1], 2, v[1:2]
	s_ashr_i32 s25, s24, 31
	v_lshlrev_b32_e32 v3, 4, v3
	s_lshl_b64 s[24:25], s[24:25], 2
	s_waitcnt lgkmcnt(0)
	s_add_u32 s0, s10, s24
	s_addc_u32 s23, s11, s25
	v_add_co_u32 v8, vcc_lo, s0, v6
	v_add_co_ci_u32_e32 v9, vcc_lo, s23, v7, vcc_lo
	s_ashr_i32 s27, s26, 31
	s_delay_alu instid0(SALU_CYCLE_1)
	s_lshl_b64 s[24:25], s[26:27], 1
	global_load_b32 v17, v[8:9], off
	s_add_u32 s0, s6, s24
	s_addc_u32 s23, s7, s25
	v_add_co_u32 v8, vcc_lo, s0, v4
	v_add_co_ci_u32_e32 v9, vcc_lo, s23, v5, vcc_lo
	s_ashr_i32 s23, s12, 3
	v_add_co_u32 v13, vcc_lo, s6, v4
	global_load_b64 v[8:9], v[8:9], off
	s_mul_i32 s24, s23, s5
	v_add_co_ci_u32_e32 v14, vcc_lo, s7, v5, vcc_lo
	s_ashr_i32 s25, s24, 31
	v_add_co_u32 v15, vcc_lo, s10, v6
	s_lshl_b64 s[6:7], s[24:25], 2
	v_add_co_ci_u32_e32 v16, vcc_lo, s11, v7, vcc_lo
	s_add_u32 s10, s8, s6
	s_addc_u32 s9, s9, s7
	v_add_co_u32 v6, vcc_lo, s10, v0
	v_add_co_ci_u32_e32 v7, vcc_lo, s9, v1, vcc_lo
	s_lshl_b32 s8, s5, 2
	s_add_i32 s11, s21, 1
	s_lshl_b64 s[6:7], s[12:13], 1
	s_mov_b32 s0, s5
	s_ashr_i32 s9, s8, 31
	s_mul_i32 s10, s11, s20
	s_add_u32 s11, s16, s6
	s_addc_u32 s13, s17, s7
	s_lshl_b64 s[6:7], s[0:1], 2
	s_mov_b64 s[0:1], src_shared_base
	s_mov_b32 s16, 0xf000f
	s_lshl_b64 s[8:9], s[8:9], 2
	s_mov_b32 s17, s12
	s_waitcnt vmcnt(1)
	v_lshrrev_b32_e32 v0, v3, v17
	s_delay_alu instid0(VALU_DEP_1) | instskip(SKIP_2) | instid1(VALU_DEP_2)
	v_bfe_u32 v2, v0, 4, 4
	s_waitcnt vmcnt(0)
	v_and_b32_e32 v18, 0xffff0000, v8
	v_add_nc_u32_e32 v2, s18, v2
	v_lshlrev_b32_e32 v19, 16, v9
	v_and_b32_e32 v20, 0xffff0000, v9
	s_delay_alu instid0(VALU_DEP_3) | instskip(NEXT) | instid1(VALU_DEP_1)
	v_cvt_f32_u32_e32 v2, v2
	v_add_f32_e32 v2, 0x43000000, v2
	v_and_b32_e32 v12, 16, v3
	v_bfe_u32 v3, v0, 8, 4
	v_bfe_u32 v0, v0, 12, 4
	s_delay_alu instid0(VALU_DEP_4) | instskip(NEXT) | instid1(VALU_DEP_4)
	v_mul_f32_e64 v22, v18, -v2
	v_bfe_u32 v1, v17, v12, 4
	s_delay_alu instid0(VALU_DEP_4) | instskip(NEXT) | instid1(VALU_DEP_4)
	v_add_nc_u32_e32 v3, s18, v3
	v_add_nc_u32_e32 v0, s18, v0
	v_lshlrev_b32_e32 v17, 16, v8
	s_delay_alu instid0(VALU_DEP_3) | instskip(NEXT) | instid1(VALU_DEP_3)
	v_cvt_f32_u32_e32 v3, v3
	v_cvt_f32_u32_e32 v0, v0
	v_add_nc_u32_e32 v1, s18, v1
	s_delay_alu instid0(VALU_DEP_2) | instskip(NEXT) | instid1(VALU_DEP_2)
	v_dual_add_f32 v3, 0x43000000, v3 :: v_dual_add_f32 v0, 0x43000000, v0
	v_cvt_f32_u32_e32 v1, v1
	s_delay_alu instid0(VALU_DEP_2) | instskip(NEXT) | instid1(VALU_DEP_3)
	v_mul_f32_e64 v23, -v3, v19
	v_mul_f32_e64 v24, -v0, v20
	s_delay_alu instid0(VALU_DEP_3) | instskip(NEXT) | instid1(VALU_DEP_1)
	v_add_f32_e32 v1, 0x43000000, v1
	v_mul_f32_e64 v21, v17, -v1
.LBB4_7:                                ; =>This Loop Header: Depth=1
                                        ;     Child Loop BB4_10 Depth 2
                                        ;     Child Loop BB4_12 Depth 2
	;; [unrolled: 1-line block ×4, first 2 shown]
	s_cmp_lg_u32 s17, s10
	s_cbranch_scc1 .LBB4_9
; %bb.8:                                ;   in Loop: Header=BB4_7 Depth=1
	s_add_i32 s21, s21, 1
	s_add_i32 s10, s10, s20
	s_mul_i32 s24, s21, s22
	s_mul_i32 s26, s21, s5
	s_ashr_i32 s25, s24, 31
	s_ashr_i32 s27, s26, 31
	s_lshl_b64 s[24:25], s[24:25], 2
	s_delay_alu instid0(SALU_CYCLE_1) | instskip(SKIP_2) | instid1(SALU_CYCLE_1)
	v_add_co_u32 v0, vcc_lo, v15, s24
	v_add_co_ci_u32_e32 v1, vcc_lo, s25, v16, vcc_lo
	s_lshl_b64 s[24:25], s[26:27], 1
	v_add_co_u32 v2, vcc_lo, v13, s24
	v_add_co_ci_u32_e32 v3, vcc_lo, s25, v14, vcc_lo
	global_load_b32 v8, v[0:1], off
	global_load_b64 v[0:1], v[2:3], off
	s_waitcnt vmcnt(1)
	v_lshrrev_b32_e32 v2, v12, v8
	v_bfe_u32 v3, v8, v12, 4
	s_waitcnt vmcnt(0)
	v_and_b32_e32 v18, 0xffff0000, v0
	v_lshlrev_b32_e32 v19, 16, v1
	v_and_b32_e32 v20, 0xffff0000, v1
	v_bfe_u32 v8, v2, 4, 4
	v_bfe_u32 v9, v2, 8, 4
	;; [unrolled: 1-line block ×3, first 2 shown]
	s_delay_alu instid0(VALU_DEP_1) | instskip(NEXT) | instid1(VALU_DEP_1)
	v_add_nc_u32_e32 v2, s18, v2
	v_cvt_f32_u32_e32 v2, v2
	v_lshlrev_b32_e32 v17, 16, v0
	v_add_nc_u32_e32 v0, s18, v3
	s_delay_alu instid0(VALU_DEP_3) | instskip(NEXT) | instid1(VALU_DEP_1)
	v_dual_add_f32 v2, 0x43000000, v2 :: v_dual_add_nc_u32 v3, s18, v8
	v_cvt_f32_u32_e32 v3, v3
	v_add_nc_u32_e32 v8, s18, v9
	s_delay_alu instid0(VALU_DEP_3) | instskip(NEXT) | instid1(VALU_DEP_3)
	v_mul_f32_e64 v24, -v2, v20
	v_add_f32_e32 v1, 0x43000000, v3
	s_delay_alu instid0(VALU_DEP_3) | instskip(NEXT) | instid1(VALU_DEP_2)
	v_cvt_f32_u32_e32 v8, v8
	v_mul_f32_e64 v22, v18, -v1
	s_delay_alu instid0(VALU_DEP_2) | instskip(SKIP_1) | instid1(VALU_DEP_1)
	v_add_f32_e32 v3, 0x43000000, v8
	v_cvt_f32_u32_e32 v0, v0
	v_add_f32_e32 v0, 0x43000000, v0
	s_delay_alu instid0(VALU_DEP_3) | instskip(NEXT) | instid1(VALU_DEP_2)
	v_mul_f32_e64 v23, -v3, v19
	v_mul_f32_e64 v21, v17, -v0
.LBB4_9:                                ;   in Loop: Header=BB4_7 Depth=1
	global_load_b128 v[0:3], v[6:7], off
	s_sub_i32 s24, s17, s12
	v_mov_b32_e32 v25, v11
	s_ashr_i32 s25, s24, 31
	s_lshl_b32 s23, s24, 1
	s_lshl_b64 s[26:27], s[24:25], 1
	s_delay_alu instid0(SALU_CYCLE_1) | instskip(SKIP_4) | instid1(SALU_CYCLE_1)
	s_add_u32 s24, s11, s26
	s_addc_u32 s25, s13, s27
	s_and_b32 s0, exec_lo, s19
	s_cselect_b32 s0, s24, s23
	s_cselect_b32 s26, s25, s1
	v_dual_mov_b32 v8, s0 :: v_dual_mov_b32 v9, s26
	s_mov_b32 s26, 0
	s_waitcnt vmcnt(0)
	ds_store_b128 v11, v[0:3]
	flat_load_b128 v[0:3], v[8:9]
	s_waitcnt vmcnt(0) lgkmcnt(0)
	v_dot2_f32_bf16 v8, v0, 0x3f803f80, 0
	s_delay_alu instid0(VALU_DEP_1) | instskip(NEXT) | instid1(VALU_DEP_1)
	v_dot2_f32_bf16 v8, v1, 0x3f803f80, v8
	v_dot2_f32_bf16 v9, v2, 0x3f803f80, v8
	v_mov_b32_e32 v8, v10
	s_delay_alu instid0(VALU_DEP_2)
	v_dot2_f32_bf16 v9, v3, 0x3f803f80, v9
.LBB4_10:                               ;   Parent Loop BB4_7 Depth=1
                                        ; =>  This Inner Loop Header: Depth=2
	ds_load_b32 v26, v25
	s_cmp_eq_u32 s26, 1
	ds_load_b32 v27, v8
	s_cselect_b32 vcc_lo, -1, 0
	s_cmp_eq_u32 s26, 2
	v_dual_cndmask_b32 v28, v17, v18 :: v_dual_add_nc_u32 v25, 4, v25
	s_cselect_b32 s0, -1, 0
	s_cmp_eq_u32 s26, 3
	s_delay_alu instid0(VALU_DEP_1) | instskip(SKIP_3) | instid1(VALU_DEP_2)
	v_cndmask_b32_e64 v28, v28, v19, s0
	v_cndmask_b32_e32 v29, v21, v22, vcc_lo
	s_cselect_b32 vcc_lo, -1, 0
	s_add_i32 s26, s26, 1
	v_cndmask_b32_e32 v28, v28, v20, vcc_lo
	s_delay_alu instid0(VALU_DEP_2)
	v_cndmask_b32_e64 v29, v29, v23, s0
	s_cmp_eq_u32 s26, 4
	s_waitcnt lgkmcnt(1)
	v_lshrrev_b32_e32 v30, 4, v26
	v_and_or_b32 v31, v26, s16, 0x43004300
	v_lshrrev_b32_e32 v32, 8, v26
	v_lshrrev_b32_e32 v26, 12, v26
	v_cndmask_b32_e32 v29, v29, v24, vcc_lo
	v_and_or_b32 v30, v30, s16, 0x43004300
	v_dot2_f32_bf16 v31, v0, v31, 0
	v_and_or_b32 v32, v32, s16, 0x43004300
	v_and_or_b32 v26, v26, s16, 0x43004300
	s_waitcnt lgkmcnt(0)
	v_fmac_f32_e32 v27, v29, v9
	v_dot2_f32_bf16 v30, v1, v30, v31
	s_delay_alu instid0(VALU_DEP_1) | instskip(NEXT) | instid1(VALU_DEP_1)
	v_dot2_f32_bf16 v30, v2, v32, v30
	v_dot2_f32_bf16 v26, v3, v26, v30
	s_delay_alu instid0(VALU_DEP_1)
	v_fmac_f32_e32 v27, v28, v26
	ds_store_b32 v8, v27
	v_add_nc_u32_e32 v8, 4, v8
	s_cbranch_scc0 .LBB4_10
; %bb.11:                               ;   in Loop: Header=BB4_7 Depth=1
	v_add_co_u32 v8, vcc_lo, v6, s6
	v_add_co_ci_u32_e32 v9, vcc_lo, s7, v7, vcc_lo
	s_add_i32 s0, s23, 16
	s_add_u32 s26, s24, 16
	s_addc_u32 s27, s25, 0
	global_load_b128 v[0:3], v[8:9], off
	s_and_b32 s28, exec_lo, s19
	s_cselect_b32 s0, s26, s0
	s_cselect_b32 s26, s27, s1
	s_delay_alu instid0(SALU_CYCLE_1)
	v_dual_mov_b32 v25, s0 :: v_dual_mov_b32 v26, s26
	v_mov_b32_e32 v27, v10
	s_mov_b32 s26, 0
	s_waitcnt vmcnt(0)
	ds_store_b128 v11, v[0:3]
	flat_load_b128 v[0:3], v[25:26]
	s_waitcnt vmcnt(0) lgkmcnt(0)
	v_dot2_f32_bf16 v25, v0, 0x3f803f80, 0
	s_delay_alu instid0(VALU_DEP_1) | instskip(NEXT) | instid1(VALU_DEP_1)
	v_dot2_f32_bf16 v25, v1, 0x3f803f80, v25
	v_dot2_f32_bf16 v26, v2, 0x3f803f80, v25
	v_mov_b32_e32 v25, v11
	s_delay_alu instid0(VALU_DEP_2)
	v_dot2_f32_bf16 v26, v3, 0x3f803f80, v26
.LBB4_12:                               ;   Parent Loop BB4_7 Depth=1
                                        ; =>  This Inner Loop Header: Depth=2
	ds_load_b32 v28, v25
	ds_load_b32 v29, v27
	s_cmp_eq_u32 s26, 1
	v_add_nc_u32_e32 v25, 4, v25
	s_cselect_b32 vcc_lo, -1, 0
	s_cmp_eq_u32 s26, 2
	v_cndmask_b32_e32 v31, v21, v22, vcc_lo
	s_cselect_b32 s0, -1, 0
	s_cmp_eq_u32 s26, 3
	s_delay_alu instid0(VALU_DEP_1) | instskip(SKIP_3) | instid1(VALU_DEP_2)
	v_cndmask_b32_e64 v31, v31, v23, s0
	v_cndmask_b32_e32 v30, v17, v18, vcc_lo
	s_cselect_b32 vcc_lo, -1, 0
	s_add_i32 s26, s26, 1
	v_cndmask_b32_e32 v31, v31, v24, vcc_lo
	s_delay_alu instid0(VALU_DEP_2)
	v_cndmask_b32_e64 v30, v30, v19, s0
	s_cmp_lg_u32 s26, 4
	s_waitcnt lgkmcnt(1)
	v_lshrrev_b32_e32 v32, 4, v28
	v_and_or_b32 v33, v28, s16, 0x43004300
	v_lshrrev_b32_e32 v34, 8, v28
	v_lshrrev_b32_e32 v28, 12, v28
	v_cndmask_b32_e32 v30, v30, v20, vcc_lo
	v_and_or_b32 v32, v32, s16, 0x43004300
	v_dot2_f32_bf16 v33, v0, v33, 0
	v_and_or_b32 v34, v34, s16, 0x43004300
	v_and_or_b32 v28, v28, s16, 0x43004300
	s_waitcnt lgkmcnt(0)
	v_fmac_f32_e32 v29, v31, v26
	v_dot2_f32_bf16 v32, v1, v32, v33
	s_delay_alu instid0(VALU_DEP_1) | instskip(NEXT) | instid1(VALU_DEP_1)
	v_dot2_f32_bf16 v32, v2, v34, v32
	v_dot2_f32_bf16 v28, v3, v28, v32
	s_delay_alu instid0(VALU_DEP_1)
	v_fmac_f32_e32 v29, v30, v28
	ds_store_b32 v27, v29
	v_add_nc_u32_e32 v27, 4, v27
	s_cbranch_scc1 .LBB4_12
; %bb.13:                               ;   in Loop: Header=BB4_7 Depth=1
	v_add_co_u32 v8, vcc_lo, v8, s6
	v_add_co_ci_u32_e32 v9, vcc_lo, s7, v9, vcc_lo
	s_add_i32 s0, s23, 32
	s_add_u32 s26, s24, 32
	s_addc_u32 s27, s25, 0
	global_load_b128 v[0:3], v[8:9], off
	s_and_b32 s28, exec_lo, s19
	s_cselect_b32 s0, s26, s0
	s_cselect_b32 s26, s27, s1
	s_delay_alu instid0(SALU_CYCLE_1)
	v_dual_mov_b32 v25, s0 :: v_dual_mov_b32 v26, s26
	v_mov_b32_e32 v27, v10
	s_mov_b32 s26, 0
	s_waitcnt vmcnt(0)
	ds_store_b128 v11, v[0:3]
	flat_load_b128 v[0:3], v[25:26]
	s_waitcnt vmcnt(0) lgkmcnt(0)
	v_dot2_f32_bf16 v25, v0, 0x3f803f80, 0
	s_delay_alu instid0(VALU_DEP_1) | instskip(NEXT) | instid1(VALU_DEP_1)
	v_dot2_f32_bf16 v25, v1, 0x3f803f80, v25
	v_dot2_f32_bf16 v26, v2, 0x3f803f80, v25
	v_mov_b32_e32 v25, v11
	s_delay_alu instid0(VALU_DEP_2)
	v_dot2_f32_bf16 v26, v3, 0x3f803f80, v26
.LBB4_14:                               ;   Parent Loop BB4_7 Depth=1
                                        ; =>  This Inner Loop Header: Depth=2
	ds_load_b32 v28, v25
	ds_load_b32 v29, v27
	s_cmp_eq_u32 s26, 1
	v_add_nc_u32_e32 v25, 4, v25
	s_cselect_b32 vcc_lo, -1, 0
	s_cmp_eq_u32 s26, 2
	v_cndmask_b32_e32 v31, v21, v22, vcc_lo
	s_cselect_b32 s0, -1, 0
	s_cmp_eq_u32 s26, 3
	s_delay_alu instid0(VALU_DEP_1) | instskip(SKIP_3) | instid1(VALU_DEP_2)
	v_cndmask_b32_e64 v31, v31, v23, s0
	v_cndmask_b32_e32 v30, v17, v18, vcc_lo
	s_cselect_b32 vcc_lo, -1, 0
	s_add_i32 s26, s26, 1
	v_cndmask_b32_e32 v31, v31, v24, vcc_lo
	s_delay_alu instid0(VALU_DEP_2)
	v_cndmask_b32_e64 v30, v30, v19, s0
	s_cmp_lg_u32 s26, 4
	s_waitcnt lgkmcnt(1)
	v_lshrrev_b32_e32 v32, 4, v28
	v_and_or_b32 v33, v28, s16, 0x43004300
	v_lshrrev_b32_e32 v34, 8, v28
	v_lshrrev_b32_e32 v28, 12, v28
	v_cndmask_b32_e32 v30, v30, v20, vcc_lo
	v_and_or_b32 v32, v32, s16, 0x43004300
	v_dot2_f32_bf16 v33, v0, v33, 0
	v_and_or_b32 v34, v34, s16, 0x43004300
	v_and_or_b32 v28, v28, s16, 0x43004300
	s_waitcnt lgkmcnt(0)
	v_fmac_f32_e32 v29, v31, v26
	v_dot2_f32_bf16 v32, v1, v32, v33
	s_delay_alu instid0(VALU_DEP_1) | instskip(NEXT) | instid1(VALU_DEP_1)
	v_dot2_f32_bf16 v32, v2, v34, v32
	v_dot2_f32_bf16 v28, v3, v28, v32
	s_delay_alu instid0(VALU_DEP_1)
	v_fmac_f32_e32 v29, v30, v28
	ds_store_b32 v27, v29
	v_add_nc_u32_e32 v27, 4, v27
	s_cbranch_scc1 .LBB4_14
; %bb.15:                               ;   in Loop: Header=BB4_7 Depth=1
	v_add_co_u32 v0, vcc_lo, v8, s6
	v_add_co_ci_u32_e32 v1, vcc_lo, s7, v9, vcc_lo
	s_add_i32 s23, s23, 48
	s_add_u32 s0, s24, 48
	s_addc_u32 s24, s25, 0
	global_load_b128 v[0:3], v[0:1], off
	s_and_b32 s25, exec_lo, s19
	s_cselect_b32 s0, s0, s23
	s_cselect_b32 s23, s24, s1
	s_delay_alu instid0(SALU_CYCLE_1)
	v_dual_mov_b32 v8, s0 :: v_dual_mov_b32 v9, s23
	s_mov_b32 s23, 0
	v_mov_b32_e32 v25, v10
	s_waitcnt vmcnt(0)
	ds_store_b128 v11, v[0:3]
	flat_load_b128 v[0:3], v[8:9]
	s_waitcnt vmcnt(0) lgkmcnt(0)
	v_dot2_f32_bf16 v8, v0, 0x3f803f80, 0
	s_delay_alu instid0(VALU_DEP_1) | instskip(NEXT) | instid1(VALU_DEP_1)
	v_dot2_f32_bf16 v8, v1, 0x3f803f80, v8
	v_dot2_f32_bf16 v9, v2, 0x3f803f80, v8
	v_mov_b32_e32 v8, v11
	s_delay_alu instid0(VALU_DEP_2)
	v_dot2_f32_bf16 v9, v3, 0x3f803f80, v9
.LBB4_16:                               ;   Parent Loop BB4_7 Depth=1
                                        ; =>  This Inner Loop Header: Depth=2
	ds_load_b32 v26, v8
	s_cmp_eq_u32 s23, 1
	ds_load_b32 v27, v25
	s_cselect_b32 vcc_lo, -1, 0
	s_cmp_eq_u32 s23, 2
	v_cndmask_b32_e32 v28, v17, v18, vcc_lo
	s_cselect_b32 s0, -1, 0
	s_cmp_eq_u32 s23, 3
	v_add_nc_u32_e32 v8, 4, v8
	s_delay_alu instid0(VALU_DEP_2) | instskip(SKIP_3) | instid1(VALU_DEP_2)
	v_cndmask_b32_e64 v28, v28, v19, s0
	v_cndmask_b32_e32 v29, v21, v22, vcc_lo
	s_cselect_b32 vcc_lo, -1, 0
	s_add_i32 s23, s23, 1
	v_cndmask_b32_e32 v28, v28, v20, vcc_lo
	s_delay_alu instid0(VALU_DEP_2)
	v_cndmask_b32_e64 v29, v29, v23, s0
	s_cmp_lg_u32 s23, 4
	s_waitcnt lgkmcnt(1)
	v_lshrrev_b32_e32 v30, 4, v26
	v_and_or_b32 v31, v26, s16, 0x43004300
	v_lshrrev_b32_e32 v32, 8, v26
	v_lshrrev_b32_e32 v26, 12, v26
	v_cndmask_b32_e32 v29, v29, v24, vcc_lo
	v_and_or_b32 v30, v30, s16, 0x43004300
	v_dot2_f32_bf16 v31, v0, v31, 0
	v_and_or_b32 v32, v32, s16, 0x43004300
	v_and_or_b32 v26, v26, s16, 0x43004300
	s_waitcnt lgkmcnt(0)
	v_fmac_f32_e32 v27, v29, v9
	v_dot2_f32_bf16 v30, v1, v30, v31
	s_delay_alu instid0(VALU_DEP_1) | instskip(NEXT) | instid1(VALU_DEP_1)
	v_dot2_f32_bf16 v30, v2, v32, v30
	v_dot2_f32_bf16 v26, v3, v26, v30
	s_delay_alu instid0(VALU_DEP_1)
	v_fmac_f32_e32 v27, v28, v26
	ds_store_b32 v25, v27
	v_add_nc_u32_e32 v25, 4, v25
	s_cbranch_scc1 .LBB4_16
; %bb.17:                               ;   in Loop: Header=BB4_7 Depth=1
	v_add_co_u32 v6, vcc_lo, v6, s8
	v_add_co_ci_u32_e32 v7, vcc_lo, s9, v7, vcc_lo
	s_add_i32 s17, s17, 32
	s_delay_alu instid0(SALU_CYCLE_1)
	s_cmp_ge_i32 s17, s15
	s_cbranch_scc0 .LBB4_7
.LBB4_18:
	s_cmp_ge_i32 s14, s4
	s_cbranch_scc1 .LBB4_53
; %bb.19:
	ds_load_b32 v1, v10
	s_waitcnt lgkmcnt(0)
	v_and_b32_e32 v0, 0x7f800000, v1
	s_delay_alu instid0(VALU_DEP_1) | instskip(SKIP_1) | instid1(SALU_CYCLE_1)
	v_cmp_ne_u32_e32 vcc_lo, 0x7f800000, v0
                                        ; implicit-def: $vgpr0
	s_and_saveexec_b32 s0, vcc_lo
	s_xor_b32 s0, exec_lo, s0
; %bb.20:
	v_bfe_u32 v0, v1, 16, 1
	s_delay_alu instid0(VALU_DEP_1)
	v_add3_u32 v0, v1, v0, 0x7fff
                                        ; implicit-def: $vgpr1
; %bb.21:
	s_and_not1_saveexec_b32 s0, s0
; %bb.22:
	v_and_b32_e32 v0, 0xffff, v1
	v_or_b32_e32 v2, 0x10000, v1
	s_delay_alu instid0(VALU_DEP_2) | instskip(NEXT) | instid1(VALU_DEP_2)
	v_cmp_eq_u32_e32 vcc_lo, 0, v0
	v_cndmask_b32_e32 v0, v2, v1, vcc_lo
; %bb.23:
	s_or_b32 exec_lo, exec_lo, s0
	ds_load_b32 v2, v10 offset:4
	s_waitcnt lgkmcnt(0)
	v_and_b32_e32 v1, 0x7f800000, v2
	s_delay_alu instid0(VALU_DEP_1) | instskip(SKIP_1) | instid1(SALU_CYCLE_1)
	v_cmp_ne_u32_e32 vcc_lo, 0x7f800000, v1
                                        ; implicit-def: $vgpr1
	s_and_saveexec_b32 s0, vcc_lo
	s_xor_b32 s0, exec_lo, s0
; %bb.24:
	v_bfe_u32 v1, v2, 16, 1
	s_delay_alu instid0(VALU_DEP_1)
	v_add3_u32 v1, v2, v1, 0x7fff
                                        ; implicit-def: $vgpr2
; %bb.25:
	s_and_not1_saveexec_b32 s0, s0
; %bb.26:
	v_and_b32_e32 v1, 0xffff, v2
	v_or_b32_e32 v3, 0x10000, v2
	s_delay_alu instid0(VALU_DEP_2) | instskip(NEXT) | instid1(VALU_DEP_2)
	v_cmp_eq_u32_e32 vcc_lo, 0, v1
	v_cndmask_b32_e32 v1, v3, v2, vcc_lo
; %bb.27:
	s_or_b32 exec_lo, exec_lo, s0
	ds_load_b32 v2, v10 offset:8
	s_mov_b32 s0, exec_lo
                                        ; implicit-def: $vgpr6
	s_waitcnt lgkmcnt(0)
	v_and_b32_e32 v3, 0x7f800000, v2
	s_delay_alu instid0(VALU_DEP_1)
	v_cmpx_ne_u32_e32 0x7f800000, v3
	s_xor_b32 s0, exec_lo, s0
; %bb.28:
	v_bfe_u32 v3, v2, 16, 1
	s_delay_alu instid0(VALU_DEP_1)
	v_add3_u32 v6, v2, v3, 0x7fff
                                        ; implicit-def: $vgpr2
; %bb.29:
	s_and_not1_saveexec_b32 s0, s0
; %bb.30:
	v_and_b32_e32 v3, 0xffff, v2
	v_or_b32_e32 v6, 0x10000, v2
	s_delay_alu instid0(VALU_DEP_2) | instskip(NEXT) | instid1(VALU_DEP_2)
	v_cmp_eq_u32_e32 vcc_lo, 0, v3
	v_cndmask_b32_e32 v6, v6, v2, vcc_lo
; %bb.31:
	s_or_b32 exec_lo, exec_lo, s0
	ds_load_b32 v2, v10 offset:12
	s_load_b64 s[0:1], s[2:3], 0x20
	s_mov_b32 s2, exec_lo
                                        ; implicit-def: $vgpr9
	s_waitcnt lgkmcnt(0)
	v_and_b32_e32 v3, 0x7f800000, v2
	s_delay_alu instid0(VALU_DEP_1)
	v_cmpx_ne_u32_e32 0x7f800000, v3
	s_xor_b32 s2, exec_lo, s2
; %bb.32:
	v_bfe_u32 v3, v2, 16, 1
	s_delay_alu instid0(VALU_DEP_1)
	v_add3_u32 v9, v2, v3, 0x7fff
                                        ; implicit-def: $vgpr2
; %bb.33:
	s_and_not1_saveexec_b32 s2, s2
; %bb.34:
	v_and_b32_e32 v3, 0xffff, v2
	v_or_b32_e32 v7, 0x10000, v2
	s_delay_alu instid0(VALU_DEP_2) | instskip(NEXT) | instid1(VALU_DEP_2)
	v_cmp_eq_u32_e32 vcc_lo, 0, v3
	v_cndmask_b32_e32 v9, v7, v2, vcc_lo
; %bb.35:
	s_or_b32 exec_lo, exec_lo, s2
	s_mul_i32 s2, s14, s5
	v_and_b32_e32 v6, 0xffff0000, v6
	s_ashr_i32 s3, s2, 31
	v_and_b32_e32 v7, 0xffff0000, v1
	s_lshl_b64 s[2:3], s[2:3], 1
	v_and_b32_e32 v8, 0xffff0000, v0
	s_add_u32 s0, s0, s2
	s_addc_u32 s1, s1, s3
	v_add_co_u32 v4, vcc_lo, s0, v4
	v_add_co_ci_u32_e32 v5, vcc_lo, s1, v5, vcc_lo
	v_and_b32_e32 v9, 0xffff0000, v9
	s_mov_b32 s0, 0
	global_load_b64 v[2:3], v[4:5], off
	s_branch .LBB4_37
.LBB4_36:                               ;   in Loop: Header=BB4_37 Depth=1
	s_or_b32 exec_lo, exec_lo, s1
	v_lshrrev_b32_e32 v1, 16, v1
	s_delay_alu instid0(VALU_DEP_2) | instskip(SKIP_1) | instid1(VALU_DEP_2)
	v_and_b32_e32 v11, 0xffff0000, v12
	v_lshrrev_b32_e32 v0, 16, v0
	v_or_b32_e32 v1, v11, v1
	s_delay_alu instid0(VALU_DEP_2)
	v_and_or_b32 v0, 0xffff0000, v10, v0
	global_atomic_cmpswap_b64 v[0:1], v[4:5], v[0:3], off glc
	s_waitcnt vmcnt(0)
	v_cmp_eq_u64_e32 vcc_lo, v[0:1], v[2:3]
	v_dual_mov_b32 v3, v1 :: v_dual_mov_b32 v2, v0
	s_or_b32 s0, vcc_lo, s0
	s_delay_alu instid0(SALU_CYCLE_1)
	s_and_not1_b32 exec_lo, exec_lo, s0
	s_cbranch_execz .LBB4_53
.LBB4_37:                               ; =>This Inner Loop Header: Depth=1
	s_waitcnt vmcnt(0)
	v_lshlrev_b32_e32 v0, 16, v2
	s_delay_alu instid0(VALU_DEP_1) | instskip(NEXT) | instid1(VALU_DEP_1)
	v_add_f32_e32 v1, v8, v0
	v_and_b32_e32 v0, 0x7f800000, v1
	s_delay_alu instid0(VALU_DEP_1) | instskip(SKIP_1) | instid1(SALU_CYCLE_1)
	v_cmp_ne_u32_e32 vcc_lo, 0x7f800000, v0
                                        ; implicit-def: $vgpr0
	s_and_saveexec_b32 s1, vcc_lo
	s_xor_b32 s1, exec_lo, s1
; %bb.38:                               ;   in Loop: Header=BB4_37 Depth=1
	v_bfe_u32 v0, v1, 16, 1
	s_delay_alu instid0(VALU_DEP_1)
	v_add3_u32 v0, v1, v0, 0x7fff
                                        ; implicit-def: $vgpr1
; %bb.39:                               ;   in Loop: Header=BB4_37 Depth=1
	s_and_not1_saveexec_b32 s1, s1
; %bb.40:                               ;   in Loop: Header=BB4_37 Depth=1
	v_and_b32_e32 v0, 0xffff, v1
	v_or_b32_e32 v10, 0x10000, v1
	s_delay_alu instid0(VALU_DEP_2) | instskip(NEXT) | instid1(VALU_DEP_2)
	v_cmp_eq_u32_e32 vcc_lo, 0, v0
	v_cndmask_b32_e32 v0, v10, v1, vcc_lo
; %bb.41:                               ;   in Loop: Header=BB4_37 Depth=1
	s_or_b32 exec_lo, exec_lo, s1
	v_and_b32_e32 v1, 0xffff0000, v2
	s_delay_alu instid0(VALU_DEP_1) | instskip(NEXT) | instid1(VALU_DEP_1)
	v_add_f32_e32 v1, v7, v1
	v_and_b32_e32 v10, 0x7f800000, v1
	s_delay_alu instid0(VALU_DEP_1) | instskip(SKIP_1) | instid1(SALU_CYCLE_1)
	v_cmp_ne_u32_e32 vcc_lo, 0x7f800000, v10
                                        ; implicit-def: $vgpr10
	s_and_saveexec_b32 s1, vcc_lo
	s_xor_b32 s1, exec_lo, s1
; %bb.42:                               ;   in Loop: Header=BB4_37 Depth=1
	v_bfe_u32 v10, v1, 16, 1
	s_delay_alu instid0(VALU_DEP_1)
	v_add3_u32 v10, v1, v10, 0x7fff
                                        ; implicit-def: $vgpr1
; %bb.43:                               ;   in Loop: Header=BB4_37 Depth=1
	s_and_not1_saveexec_b32 s1, s1
; %bb.44:                               ;   in Loop: Header=BB4_37 Depth=1
	v_and_b32_e32 v10, 0xffff, v1
	v_or_b32_e32 v11, 0x10000, v1
	s_delay_alu instid0(VALU_DEP_2) | instskip(NEXT) | instid1(VALU_DEP_2)
	v_cmp_eq_u32_e32 vcc_lo, 0, v10
	v_cndmask_b32_e32 v10, v11, v1, vcc_lo
; %bb.45:                               ;   in Loop: Header=BB4_37 Depth=1
	s_or_b32 exec_lo, exec_lo, s1
	v_alignbit_b32 v1, v3, v2, 16
	s_delay_alu instid0(VALU_DEP_1) | instskip(NEXT) | instid1(VALU_DEP_1)
	v_and_b32_e32 v1, 0xffff0000, v1
	v_add_f32_e32 v11, v6, v1
	s_delay_alu instid0(VALU_DEP_1) | instskip(NEXT) | instid1(VALU_DEP_1)
	v_and_b32_e32 v1, 0x7f800000, v11
	v_cmp_ne_u32_e32 vcc_lo, 0x7f800000, v1
                                        ; implicit-def: $vgpr1
	s_and_saveexec_b32 s1, vcc_lo
	s_delay_alu instid0(SALU_CYCLE_1)
	s_xor_b32 s1, exec_lo, s1
; %bb.46:                               ;   in Loop: Header=BB4_37 Depth=1
	v_bfe_u32 v1, v11, 16, 1
	s_delay_alu instid0(VALU_DEP_1)
	v_add3_u32 v1, v11, v1, 0x7fff
                                        ; implicit-def: $vgpr11
; %bb.47:                               ;   in Loop: Header=BB4_37 Depth=1
	s_and_not1_saveexec_b32 s1, s1
; %bb.48:                               ;   in Loop: Header=BB4_37 Depth=1
	v_and_b32_e32 v1, 0xffff, v11
	v_or_b32_e32 v12, 0x10000, v11
	s_delay_alu instid0(VALU_DEP_2) | instskip(NEXT) | instid1(VALU_DEP_2)
	v_cmp_eq_u32_e32 vcc_lo, 0, v1
	v_cndmask_b32_e32 v1, v12, v11, vcc_lo
; %bb.49:                               ;   in Loop: Header=BB4_37 Depth=1
	s_or_b32 exec_lo, exec_lo, s1
	v_and_b32_e32 v11, 0xffff0000, v3
	s_delay_alu instid0(VALU_DEP_1) | instskip(NEXT) | instid1(VALU_DEP_1)
	v_add_f32_e32 v11, v9, v11
	v_and_b32_e32 v12, 0x7f800000, v11
	s_delay_alu instid0(VALU_DEP_1) | instskip(SKIP_1) | instid1(SALU_CYCLE_1)
	v_cmp_ne_u32_e32 vcc_lo, 0x7f800000, v12
                                        ; implicit-def: $vgpr12
	s_and_saveexec_b32 s1, vcc_lo
	s_xor_b32 s1, exec_lo, s1
; %bb.50:                               ;   in Loop: Header=BB4_37 Depth=1
	v_bfe_u32 v12, v11, 16, 1
	s_delay_alu instid0(VALU_DEP_1)
	v_add3_u32 v12, v11, v12, 0x7fff
                                        ; implicit-def: $vgpr11
; %bb.51:                               ;   in Loop: Header=BB4_37 Depth=1
	s_and_not1_saveexec_b32 s1, s1
	s_cbranch_execz .LBB4_36
; %bb.52:                               ;   in Loop: Header=BB4_37 Depth=1
	v_and_b32_e32 v12, 0xffff, v11
	v_or_b32_e32 v13, 0x10000, v11
	s_delay_alu instid0(VALU_DEP_2) | instskip(NEXT) | instid1(VALU_DEP_2)
	v_cmp_eq_u32_e32 vcc_lo, 0, v12
	v_cndmask_b32_e32 v12, v13, v11, vcc_lo
	s_branch .LBB4_36
.LBB4_53:
	s_endpgm
	.section	.rodata,"a",@progbits
	.p2align	6, 0x0
	.amdhsa_kernel _ZN4vllm10gptq_rdna320gemm_q4_kernel_rdna3I14__hip_bfloat16Li1EEEvPKT_PKjS7_S5_PS3_iiiiiPKi
		.amdhsa_group_segment_fixed_size 33296
		.amdhsa_private_segment_fixed_size 0
		.amdhsa_kernarg_size 72
		.amdhsa_user_sgpr_count 13
		.amdhsa_user_sgpr_dispatch_ptr 1
		.amdhsa_user_sgpr_queue_ptr 0
		.amdhsa_user_sgpr_kernarg_segment_ptr 1
		.amdhsa_user_sgpr_dispatch_id 0
		.amdhsa_user_sgpr_private_segment_size 0
		.amdhsa_wavefront_size32 1
		.amdhsa_uses_dynamic_stack 0
		.amdhsa_enable_private_segment 0
		.amdhsa_system_sgpr_workgroup_id_x 1
		.amdhsa_system_sgpr_workgroup_id_y 1
		.amdhsa_system_sgpr_workgroup_id_z 1
		.amdhsa_system_sgpr_workgroup_info 0
		.amdhsa_system_vgpr_workitem_id 2
		.amdhsa_next_free_vgpr 35
		.amdhsa_next_free_sgpr 29
		.amdhsa_reserve_vcc 1
		.amdhsa_float_round_mode_32 0
		.amdhsa_float_round_mode_16_64 0
		.amdhsa_float_denorm_mode_32 3
		.amdhsa_float_denorm_mode_16_64 3
		.amdhsa_dx10_clamp 1
		.amdhsa_ieee_mode 1
		.amdhsa_fp16_overflow 0
		.amdhsa_workgroup_processor_mode 1
		.amdhsa_memory_ordered 1
		.amdhsa_forward_progress 0
		.amdhsa_shared_vgpr_count 0
		.amdhsa_exception_fp_ieee_invalid_op 0
		.amdhsa_exception_fp_denorm_src 0
		.amdhsa_exception_fp_ieee_div_zero 0
		.amdhsa_exception_fp_ieee_overflow 0
		.amdhsa_exception_fp_ieee_underflow 0
		.amdhsa_exception_fp_ieee_inexact 0
		.amdhsa_exception_int_div_zero 0
	.end_amdhsa_kernel
	.section	.text._ZN4vllm10gptq_rdna320gemm_q4_kernel_rdna3I14__hip_bfloat16Li1EEEvPKT_PKjS7_S5_PS3_iiiiiPKi,"axG",@progbits,_ZN4vllm10gptq_rdna320gemm_q4_kernel_rdna3I14__hip_bfloat16Li1EEEvPKT_PKjS7_S5_PS3_iiiiiPKi,comdat
.Lfunc_end4:
	.size	_ZN4vllm10gptq_rdna320gemm_q4_kernel_rdna3I14__hip_bfloat16Li1EEEvPKT_PKjS7_S5_PS3_iiiiiPKi, .Lfunc_end4-_ZN4vllm10gptq_rdna320gemm_q4_kernel_rdna3I14__hip_bfloat16Li1EEEvPKT_PKjS7_S5_PS3_iiiiiPKi
                                        ; -- End function
	.section	.AMDGPU.csdata,"",@progbits
; Kernel info:
; codeLenInByte = 3928
; NumSgprs: 31
; NumVgprs: 35
; ScratchSize: 0
; MemoryBound: 0
; FloatMode: 240
; IeeeMode: 1
; LDSByteSize: 33296 bytes/workgroup (compile time only)
; SGPRBlocks: 3
; VGPRBlocks: 4
; NumSGPRsForWavesPerEU: 31
; NumVGPRsForWavesPerEU: 35
; Occupancy: 16
; WaveLimiterHint : 1
; COMPUTE_PGM_RSRC2:SCRATCH_EN: 0
; COMPUTE_PGM_RSRC2:USER_SGPR: 13
; COMPUTE_PGM_RSRC2:TRAP_HANDLER: 0
; COMPUTE_PGM_RSRC2:TGID_X_EN: 1
; COMPUTE_PGM_RSRC2:TGID_Y_EN: 1
; COMPUTE_PGM_RSRC2:TGID_Z_EN: 1
; COMPUTE_PGM_RSRC2:TIDIG_COMP_CNT: 2
	.section	.text._ZN4vllm10gptq_rdna320gemm_q4_kernel_rdna3I14__hip_bfloat16Li2EEEvPKT_PKjS7_S5_PS3_iiiiiPKi,"axG",@progbits,_ZN4vllm10gptq_rdna320gemm_q4_kernel_rdna3I14__hip_bfloat16Li2EEEvPKT_PKjS7_S5_PS3_iiiiiPKi,comdat
	.protected	_ZN4vllm10gptq_rdna320gemm_q4_kernel_rdna3I14__hip_bfloat16Li2EEEvPKT_PKjS7_S5_PS3_iiiiiPKi ; -- Begin function _ZN4vllm10gptq_rdna320gemm_q4_kernel_rdna3I14__hip_bfloat16Li2EEEvPKT_PKjS7_S5_PS3_iiiiiPKi
	.globl	_ZN4vllm10gptq_rdna320gemm_q4_kernel_rdna3I14__hip_bfloat16Li2EEEvPKT_PKjS7_S5_PS3_iiiiiPKi
	.p2align	8
	.type	_ZN4vllm10gptq_rdna320gemm_q4_kernel_rdna3I14__hip_bfloat16Li2EEEvPKT_PKjS7_S5_PS3_iiiiiPKi,@function
_ZN4vllm10gptq_rdna320gemm_q4_kernel_rdna3I14__hip_bfloat16Li2EEEvPKT_PKjS7_S5_PS3_iiiiiPKi: ; @_ZN4vllm10gptq_rdna320gemm_q4_kernel_rdna3I14__hip_bfloat16Li2EEEvPKT_PKjS7_S5_PS3_iiiiiPKi
; %bb.0:
	s_clause 0x2
	s_load_b256 s[4:11], s[2:3], 0x18
	s_load_b128 s[16:19], s[2:3], 0x8
	s_load_b32 s20, s[2:3], 0x38
	v_and_b32_e32 v7, 0x3ff, v0
	s_lshl_b32 s15, s15, 8
	s_delay_alu instid0(SALU_CYCLE_1) | instskip(NEXT) | instid1(VALU_DEP_1)
	s_add_i32 s12, s15, 0x100
	v_add_nc_u32_e32 v1, s15, v7
	s_waitcnt lgkmcnt(0)
	s_min_i32 s21, s12, s10
	s_lshl_b32 s12, s14, 1
	s_mov_b32 s14, exec_lo
	v_cmpx_gt_i32_e64 s21, v1
	s_cbranch_execz .LBB5_10
; %bb.1:
	s_clause 0x1
	s_load_b64 s[24:25], s[2:3], 0x40
	s_load_b64 s[2:3], s[2:3], 0x0
	v_ashrrev_i32_e32 v2, 31, v1
	v_mov_b32_e32 v6, 0
	s_delay_alu instid0(VALU_DEP_2) | instskip(SKIP_2) | instid1(VALU_DEP_1)
	v_lshlrev_b64 v[3:4], 2, v[1:2]
	s_waitcnt lgkmcnt(0)
	s_cmp_lg_u64 s[24:25], 0
	v_add_co_u32 v3, vcc_lo, s24, v3
	s_cselect_b32 s22, -1, 0
	s_delay_alu instid0(VALU_DEP_2) | instskip(SKIP_2) | instid1(VALU_DEP_1)
	v_add_co_ci_u32_e32 v4, vcc_lo, s25, v4, vcc_lo
	v_cndmask_b32_e64 v5, 0, 1, s22
	s_cmp_ge_i32 s12, s8
	v_cmp_ne_u32_e32 vcc_lo, 1, v5
	s_cbranch_scc1 .LBB5_5
; %bb.2:
	v_dual_mov_b32 v6, v2 :: v_dual_mov_b32 v5, v1
	s_and_b32 vcc_lo, exec_lo, vcc_lo
	s_cbranch_vccnz .LBB5_4
; %bb.3:
	global_load_b32 v5, v[3:4], off
	s_waitcnt vmcnt(0)
	v_ashrrev_i32_e32 v6, 31, v5
.LBB5_4:
	s_mul_i32 s24, s12, s10
	s_delay_alu instid0(VALU_DEP_1) | instskip(SKIP_1) | instid1(SALU_CYCLE_1)
	v_lshlrev_b64 v[5:6], 1, v[5:6]
	s_ashr_i32 s25, s24, 31
	s_lshl_b64 s[24:25], s[24:25], 1
	s_delay_alu instid0(SALU_CYCLE_1) | instskip(SKIP_1) | instid1(VALU_DEP_1)
	s_add_u32 s23, s2, s24
	s_addc_u32 s24, s3, s25
	v_add_co_u32 v5, vcc_lo, s23, v5
	v_add_co_ci_u32_e32 v6, vcc_lo, s24, v6, vcc_lo
	global_load_u16 v6, v[5:6], off
.LBB5_5:
	v_dual_mov_b32 v8, 0 :: v_dual_lshlrev_b32 v5, 1, v7
	s_or_b32 s23, s12, 1
	s_delay_alu instid0(SALU_CYCLE_1)
	s_cmp_ge_i32 s23, s8
	s_waitcnt vmcnt(0)
	ds_store_b16 v5, v6
	s_cbranch_scc1 .LBB5_9
; %bb.6:
	s_and_not1_b32 vcc_lo, exec_lo, s22
	s_cbranch_vccnz .LBB5_8
; %bb.7:
	global_load_b32 v1, v[3:4], off
	s_waitcnt vmcnt(0)
	v_ashrrev_i32_e32 v2, 31, v1
.LBB5_8:
	s_mul_i32 s22, s23, s10
	s_delay_alu instid0(VALU_DEP_1) | instskip(SKIP_1) | instid1(SALU_CYCLE_1)
	v_lshlrev_b64 v[1:2], 1, v[1:2]
	s_ashr_i32 s23, s22, 31
	s_lshl_b64 s[22:23], s[22:23], 1
	s_delay_alu instid0(SALU_CYCLE_1) | instskip(SKIP_1) | instid1(VALU_DEP_1)
	s_add_u32 s2, s2, s22
	s_addc_u32 s3, s3, s23
	v_add_co_u32 v1, vcc_lo, s2, v1
	v_add_co_ci_u32_e32 v2, vcc_lo, s3, v2, vcc_lo
	global_load_u16 v8, v[1:2], off
.LBB5_9:
	s_waitcnt vmcnt(0)
	ds_store_b16 v5, v8 offset:528
.LBB5_10:
	s_or_b32 exec_lo, exec_lo, s14
	v_lshlrev_b32_e32 v1, 2, v7
	s_waitcnt lgkmcnt(0)
	s_barrier
	buffer_gl0_inv
	s_mov_b32 s2, exec_lo
	v_lshl_add_u32 v1, s13, 10, v1
	s_delay_alu instid0(VALU_DEP_1)
	v_cmpx_gt_i32_e64 s9, v1
	s_cbranch_execz .LBB5_95
; %bb.11:
	s_abs_i32 s2, s11
	s_mov_b32 s24, 0
	v_cvt_f32_u32_e32 v2, s2
	s_mov_b32 s25, s24
	s_mov_b32 s26, s24
	s_mov_b32 s27, s24
	s_load_b64 s[0:1], s[0:1], 0x4
	v_rcp_iflag_f32_e32 v2, v2
	s_sub_i32 s13, 0, s2
	s_abs_i32 s14, s10
	s_xor_b32 s11, s10, s11
	v_bfe_u32 v3, v0, 10, 10
	s_ashr_i32 s11, s11, 31
	v_bfe_u32 v0, v0, 20, 10
	s_waitcnt_depctr 0xfff
	v_mul_f32_e32 v2, 0x4f7ffffe, v2
	s_delay_alu instid0(VALU_DEP_1) | instskip(SKIP_2) | instid1(VALU_DEP_1)
	v_cvt_u32_f32_e32 v2, v2
	s_waitcnt lgkmcnt(0)
	s_lshr_b32 s22, s0, 16
	v_readfirstlane_b32 s3, v2
	s_mul_i32 s22, s22, s1
	v_mul_u32_u24_e32 v3, s1, v3
	v_mul_lo_u32 v4, s22, v7
	s_delay_alu instid0(VALU_DEP_3) | instskip(NEXT) | instid1(SALU_CYCLE_1)
	s_mul_i32 s13, s13, s3
	s_mul_hi_u32 s13, s3, s13
	s_delay_alu instid0(SALU_CYCLE_1) | instskip(NEXT) | instid1(VALU_DEP_1)
	s_add_i32 s3, s3, s13
	v_add3_u32 v0, v4, v3, v0
	s_mul_hi_u32 s3, s14, s3
	s_delay_alu instid0(SALU_CYCLE_1) | instskip(NEXT) | instid1(SALU_CYCLE_1)
	s_mul_i32 s13, s3, s2
	s_sub_i32 s0, s14, s13
	s_add_i32 s13, s3, 1
	s_sub_i32 s14, s0, s2
	s_cmp_ge_u32 s0, s2
	v_lshlrev_b32_e32 v10, 5, v0
	s_cselect_b32 s3, s13, s3
	s_cselect_b32 s0, s14, s0
	s_add_i32 s13, s3, 1
	s_cmp_ge_u32 s0, s2
	v_add_nc_u32_e32 v14, 0x420, v10
	s_cselect_b32 s0, s13, s3
	s_delay_alu instid0(SALU_CYCLE_1) | instskip(NEXT) | instid1(SALU_CYCLE_1)
	s_xor_b32 s0, s0, s11
	s_sub_i32 s11, s0, s11
	s_delay_alu instid0(SALU_CYCLE_1) | instskip(SKIP_2) | instid1(VALU_DEP_1)
	s_abs_i32 s0, s11
	s_cmp_ge_i32 s15, s10
	v_cvt_f32_u32_e32 v2, s0
	v_rcp_iflag_f32_e32 v2, v2
	s_waitcnt_depctr 0xfff
	v_mul_f32_e32 v3, 0x4f7ffffe, v2
	v_ashrrev_i32_e32 v2, 31, v1
	s_delay_alu instid0(VALU_DEP_2) | instskip(SKIP_1) | instid1(VALU_DEP_3)
	v_cvt_u32_f32_e32 v11, v3
	v_mov_b32_e32 v3, s24
	v_lshlrev_b64 v[8:9], 1, v[1:2]
	v_dual_mov_b32 v4, s25 :: v_dual_mov_b32 v5, s26
	v_mov_b32_e32 v6, s27
	v_readfirstlane_b32 s1, v11
	ds_store_b128 v10, v[3:6] offset:1056
	ds_store_b128 v10, v[3:6] offset:1072
	s_cbranch_scc1 .LBB5_24
; %bb.12:
	s_sub_i32 s2, 0, s0
	s_abs_i32 s10, s15
	s_mul_i32 s2, s2, s1
	s_ashr_i32 s3, s15, 31
	s_mul_hi_u32 s2, s1, s2
	v_lshrrev_b32_e32 v3, 29, v2
	s_add_i32 s1, s1, s2
	s_ashr_i32 s2, s11, 31
	s_mul_hi_u32 s1, s10, s1
	s_xor_b32 s2, s3, s2
	s_mul_i32 s3, s1, s0
	v_add_nc_u32_e32 v3, v1, v3
	s_sub_i32 s3, s10, s3
	s_add_i32 s10, s1, 1
	s_sub_i32 s13, s3, s0
	s_cmp_ge_u32 s3, s0
	v_ashrrev_i32_e32 v3, 3, v3
	s_cselect_b32 s1, s10, s1
	s_cselect_b32 s3, s13, s3
	s_add_i32 s10, s1, 1
	s_cmp_ge_u32 s3, s0
	v_ashrrev_i32_e32 v4, 31, v3
	s_cselect_b32 s0, s10, s1
	s_ashr_i32 s1, s9, 31
	s_xor_b32 s0, s0, s2
	s_lshr_b32 s3, s1, 29
	s_sub_i32 s10, s0, s2
	s_add_i32 s3, s9, s3
	v_lshlrev_b64 v[3:4], 2, v[3:4]
	s_ashr_i32 s13, s3, 3
	s_mul_i32 s22, s10, s9
	s_mul_i32 s2, s10, s13
	v_lshlrev_b32_e32 v7, 4, v7
	s_ashr_i32 s3, s2, 31
	v_lshl_add_u32 v17, v0, 4, 0x8420
	s_lshl_b64 s[2:3], s[2:3], 2
	v_lshlrev_b64 v[0:1], 2, v[1:2]
	s_add_u32 s0, s18, s2
	s_addc_u32 s2, s19, s3
	v_add_co_u32 v5, vcc_lo, s0, v3
	v_add_co_ci_u32_e32 v6, vcc_lo, s2, v4, vcc_lo
	s_ashr_i32 s23, s22, 31
	s_delay_alu instid0(SALU_CYCLE_1)
	s_lshl_b64 s[2:3], s[22:23], 1
	global_load_b32 v12, v[5:6], off
	s_add_u32 s0, s4, s2
	s_addc_u32 s2, s5, s3
	v_add_co_u32 v5, vcc_lo, s0, v8
	v_add_co_ci_u32_e32 v6, vcc_lo, s2, v9, vcc_lo
	s_ashr_i32 s0, s15, 3
	v_add_co_u32 v15, vcc_lo, s4, v8
	global_load_b64 v[5:6], v[5:6], off
	s_mul_i32 s2, s0, s9
	v_add_co_ci_u32_e32 v16, vcc_lo, s5, v9, vcc_lo
	s_ashr_i32 s3, s2, 31
	v_add_co_u32 v19, vcc_lo, s18, v3
	s_lshl_b64 s[2:3], s[2:3], 2
	v_add_co_ci_u32_e32 v20, vcc_lo, s19, v4, vcc_lo
	s_add_u32 s2, s16, s2
	s_addc_u32 s3, s17, s3
	v_add_co_u32 v10, vcc_lo, s2, v0
	v_add_co_ci_u32_e32 v11, vcc_lo, s3, v1, vcc_lo
	s_add_i32 s5, s10, 1
	s_lshl_b32 s4, s9, 2
	s_mov_b32 s0, s9
	s_mul_i32 s14, s5, s11
	s_ashr_i32 s5, s4, 31
	s_lshl_b64 s[2:3], s[0:1], 2
	s_mov_b32 s1, 0xf000f
	s_lshl_b64 s[4:5], s[4:5], 2
	s_mov_b32 s16, s15
	s_waitcnt vmcnt(1)
	v_lshrrev_b32_e32 v2, v7, v12
	s_delay_alu instid0(VALU_DEP_1)
	v_bfe_u32 v1, v2, 4, 4
	v_bfe_u32 v3, v2, 8, 4
	;; [unrolled: 1-line block ×3, first 2 shown]
	s_waitcnt vmcnt(0)
	v_lshlrev_b32_e32 v21, 16, v5
	v_add_nc_u32_e32 v1, s20, v1
	s_delay_alu instid0(VALU_DEP_3)
	v_add_nc_u32_e32 v2, s20, v2
	v_add_nc_u32_e32 v3, s20, v3
	v_and_b32_e32 v22, 0xffff0000, v5
	v_lshlrev_b32_e32 v23, 16, v6
	v_cvt_f32_u32_e32 v1, v1
	v_cvt_f32_u32_e32 v2, v2
	;; [unrolled: 1-line block ×3, first 2 shown]
	v_and_b32_e32 v24, 0xffff0000, v6
	s_delay_alu instid0(VALU_DEP_3) | instskip(SKIP_1) | instid1(VALU_DEP_4)
	v_dual_add_f32 v1, 0x43000000, v1 :: v_dual_add_f32 v2, 0x43000000, v2
	v_and_b32_e32 v18, 16, v7
	v_add_f32_e32 v3, 0x43000000, v3
	s_delay_alu instid0(VALU_DEP_3) | instskip(NEXT) | instid1(VALU_DEP_4)
	v_mul_f32_e64 v26, v22, -v1
	v_mul_f32_e64 v28, -v2, v24
	s_delay_alu instid0(VALU_DEP_4) | instskip(NEXT) | instid1(VALU_DEP_4)
	v_bfe_u32 v0, v12, v18, 4
	v_mul_f32_e64 v27, -v3, v23
	s_delay_alu instid0(VALU_DEP_2) | instskip(NEXT) | instid1(VALU_DEP_1)
	v_add_nc_u32_e32 v0, s20, v0
	v_cvt_f32_u32_e32 v0, v0
	s_delay_alu instid0(VALU_DEP_1) | instskip(NEXT) | instid1(VALU_DEP_1)
	v_add_f32_e32 v0, 0x43000000, v0
	v_mul_f32_e64 v25, v21, -v0
.LBB5_13:                               ; =>This Loop Header: Depth=1
                                        ;     Child Loop BB5_16 Depth 2
                                        ;     Child Loop BB5_18 Depth 2
	;; [unrolled: 1-line block ×4, first 2 shown]
	s_cmp_lg_u32 s16, s14
	s_cbranch_scc1 .LBB5_15
; %bb.14:                               ;   in Loop: Header=BB5_13 Depth=1
	s_add_i32 s10, s10, 1
	s_add_i32 s14, s14, s11
	s_mul_i32 s18, s10, s13
	s_mul_i32 s22, s10, s9
	s_ashr_i32 s19, s18, 31
	s_ashr_i32 s23, s22, 31
	s_lshl_b64 s[18:19], s[18:19], 2
	s_delay_alu instid0(SALU_CYCLE_1) | instskip(SKIP_2) | instid1(SALU_CYCLE_1)
	v_add_co_u32 v0, vcc_lo, v19, s18
	v_add_co_ci_u32_e32 v1, vcc_lo, s19, v20, vcc_lo
	s_lshl_b64 s[18:19], s[22:23], 1
	v_add_co_u32 v2, vcc_lo, v15, s18
	v_add_co_ci_u32_e32 v3, vcc_lo, s19, v16, vcc_lo
	global_load_b32 v4, v[0:1], off
	global_load_b64 v[0:1], v[2:3], off
	s_waitcnt vmcnt(1)
	v_lshrrev_b32_e32 v2, v18, v4
	v_bfe_u32 v3, v4, v18, 4
	s_waitcnt vmcnt(0)
	v_and_b32_e32 v22, 0xffff0000, v0
	v_lshlrev_b32_e32 v23, 16, v1
	v_and_b32_e32 v24, 0xffff0000, v1
	v_bfe_u32 v4, v2, 4, 4
	v_bfe_u32 v5, v2, 8, 4
	;; [unrolled: 1-line block ×3, first 2 shown]
	s_delay_alu instid0(VALU_DEP_1) | instskip(NEXT) | instid1(VALU_DEP_1)
	v_add_nc_u32_e32 v2, s20, v2
	v_cvt_f32_u32_e32 v2, v2
	v_lshlrev_b32_e32 v21, 16, v0
	v_add_nc_u32_e32 v0, s20, v3
	s_delay_alu instid0(VALU_DEP_3) | instskip(NEXT) | instid1(VALU_DEP_1)
	v_dual_add_f32 v2, 0x43000000, v2 :: v_dual_add_nc_u32 v3, s20, v4
	v_cvt_f32_u32_e32 v3, v3
	v_add_nc_u32_e32 v4, s20, v5
	s_delay_alu instid0(VALU_DEP_3) | instskip(NEXT) | instid1(VALU_DEP_3)
	v_mul_f32_e64 v28, -v2, v24
	v_add_f32_e32 v1, 0x43000000, v3
	s_delay_alu instid0(VALU_DEP_3) | instskip(NEXT) | instid1(VALU_DEP_2)
	v_cvt_f32_u32_e32 v4, v4
	v_mul_f32_e64 v26, v22, -v1
	s_delay_alu instid0(VALU_DEP_2) | instskip(SKIP_1) | instid1(VALU_DEP_1)
	v_add_f32_e32 v3, 0x43000000, v4
	v_cvt_f32_u32_e32 v0, v0
	v_add_f32_e32 v0, 0x43000000, v0
	s_delay_alu instid0(VALU_DEP_3) | instskip(NEXT) | instid1(VALU_DEP_2)
	v_mul_f32_e64 v27, -v3, v23
	v_mul_f32_e64 v25, v21, -v0
.LBB5_15:                               ;   in Loop: Header=BB5_13 Depth=1
	global_load_b128 v[31:34], v[10:11], off
	s_sub_i32 s0, s16, s15
	v_mov_b32_e32 v30, v17
	s_lshl_b32 s17, s0, 1
	s_delay_alu instid0(SALU_CYCLE_1)
	v_dual_mov_b32 v29, v14 :: v_dual_mov_b32 v4, s17
	s_mov_b32 s18, 0
	ds_load_b128 v[0:3], v4
	ds_load_b128 v[4:7], v4 offset:528
	s_waitcnt lgkmcnt(1)
	v_dot2_f32_bf16 v12, v0, 0x3f803f80, 0
	s_waitcnt lgkmcnt(0)
	v_dot2_f32_bf16 v13, v4, 0x3f803f80, 0
	s_delay_alu instid0(VALU_DEP_2) | instskip(NEXT) | instid1(VALU_DEP_2)
	v_dot2_f32_bf16 v12, v1, 0x3f803f80, v12
	v_dot2_f32_bf16 v13, v5, 0x3f803f80, v13
	s_delay_alu instid0(VALU_DEP_2) | instskip(NEXT) | instid1(VALU_DEP_2)
	v_dot2_f32_bf16 v12, v2, 0x3f803f80, v12
	;; [unrolled: 3-line block ×3, first 2 shown]
	v_dot2_f32_bf16 v13, v7, 0x3f803f80, v13
	s_waitcnt vmcnt(0)
	ds_store_b128 v17, v[31:34]
.LBB5_16:                               ;   Parent Loop BB5_13 Depth=1
                                        ; =>  This Inner Loop Header: Depth=2
	ds_load_b32 v33, v30
	ds_load_2addr_b32 v[31:32], v29 offset1:4
	s_cmp_eq_u32 s18, 1
	v_add_nc_u32_e32 v30, 4, v30
	s_cselect_b32 vcc_lo, -1, 0
	s_cmp_eq_u32 s18, 2
	v_cndmask_b32_e32 v35, v25, v26, vcc_lo
	s_cselect_b32 s0, -1, 0
	s_cmp_eq_u32 s18, 3
	s_delay_alu instid0(VALU_DEP_1) | instskip(SKIP_3) | instid1(VALU_DEP_2)
	v_cndmask_b32_e64 v35, v35, v27, s0
	v_cndmask_b32_e32 v34, v21, v22, vcc_lo
	s_cselect_b32 vcc_lo, -1, 0
	s_add_i32 s18, s18, 1
	v_cndmask_b32_e32 v35, v35, v28, vcc_lo
	s_delay_alu instid0(VALU_DEP_2)
	v_cndmask_b32_e64 v34, v34, v23, s0
	s_cmp_eq_u32 s18, 4
	s_waitcnt lgkmcnt(1)
	v_lshrrev_b32_e32 v36, 4, v33
	v_and_or_b32 v37, v33, s1, 0x43004300
	v_lshrrev_b32_e32 v38, 8, v33
	v_lshrrev_b32_e32 v33, 12, v33
	v_cndmask_b32_e32 v34, v34, v24, vcc_lo
	v_and_or_b32 v36, v36, s1, 0x43004300
	v_dot2_f32_bf16 v39, v0, v37, 0
	v_dot2_f32_bf16 v37, v4, v37, 0
	v_and_or_b32 v38, v38, s1, 0x43004300
	v_and_or_b32 v33, v33, s1, 0x43004300
	s_waitcnt lgkmcnt(0)
	v_fma_f32 v31, v35, v12, v31
	v_dot2_f32_bf16 v39, v1, v36, v39
	v_dot2_f32_bf16 v36, v5, v36, v37
	v_fmac_f32_e32 v32, v35, v13
	s_delay_alu instid0(VALU_DEP_3) | instskip(NEXT) | instid1(VALU_DEP_3)
	v_dot2_f32_bf16 v37, v2, v38, v39
	v_dot2_f32_bf16 v36, v6, v38, v36
	s_delay_alu instid0(VALU_DEP_2) | instskip(NEXT) | instid1(VALU_DEP_2)
	v_dot2_f32_bf16 v35, v3, v33, v37
	v_dot2_f32_bf16 v33, v7, v33, v36
	s_delay_alu instid0(VALU_DEP_2) | instskip(NEXT) | instid1(VALU_DEP_2)
	v_fmac_f32_e32 v31, v34, v35
	v_fmac_f32_e32 v32, v34, v33
	ds_store_2addr_b32 v29, v31, v32 offset1:4
	v_add_nc_u32_e32 v29, 4, v29
	s_cbranch_scc0 .LBB5_16
; %bb.17:                               ;   in Loop: Header=BB5_13 Depth=1
	v_add_co_u32 v12, vcc_lo, v10, s2
	v_add_co_ci_u32_e32 v13, vcc_lo, s3, v11, vcc_lo
	v_dual_mov_b32 v4, s17 :: v_dual_mov_b32 v31, v17
	v_mov_b32_e32 v32, v14
	global_load_b128 v[33:36], v[12:13], off
	ds_load_b128 v[0:3], v4 offset:16
	ds_load_b128 v[4:7], v4 offset:544
	s_mov_b32 s18, 0
	s_waitcnt lgkmcnt(1)
	v_dot2_f32_bf16 v29, v0, 0x3f803f80, 0
	s_waitcnt lgkmcnt(0)
	v_dot2_f32_bf16 v30, v4, 0x3f803f80, 0
	s_delay_alu instid0(VALU_DEP_2) | instskip(NEXT) | instid1(VALU_DEP_2)
	v_dot2_f32_bf16 v29, v1, 0x3f803f80, v29
	v_dot2_f32_bf16 v30, v5, 0x3f803f80, v30
	s_delay_alu instid0(VALU_DEP_2) | instskip(NEXT) | instid1(VALU_DEP_2)
	v_dot2_f32_bf16 v29, v2, 0x3f803f80, v29
	;; [unrolled: 3-line block ×3, first 2 shown]
	v_dot2_f32_bf16 v30, v7, 0x3f803f80, v30
	s_waitcnt vmcnt(0)
	ds_store_b128 v17, v[33:36]
.LBB5_18:                               ;   Parent Loop BB5_13 Depth=1
                                        ; =>  This Inner Loop Header: Depth=2
	ds_load_b32 v35, v31
	s_cmp_eq_u32 s18, 1
	ds_load_2addr_b32 v[33:34], v32 offset1:4
	s_cselect_b32 vcc_lo, -1, 0
	s_cmp_eq_u32 s18, 2
	v_dual_cndmask_b32 v36, v21, v22 :: v_dual_add_nc_u32 v31, 4, v31
	s_cselect_b32 s0, -1, 0
	s_cmp_eq_u32 s18, 3
	s_delay_alu instid0(VALU_DEP_1) | instskip(SKIP_3) | instid1(VALU_DEP_2)
	v_cndmask_b32_e64 v36, v36, v23, s0
	v_cndmask_b32_e32 v37, v25, v26, vcc_lo
	s_cselect_b32 vcc_lo, -1, 0
	s_add_i32 s18, s18, 1
	v_cndmask_b32_e32 v36, v36, v24, vcc_lo
	s_delay_alu instid0(VALU_DEP_2)
	v_cndmask_b32_e64 v37, v37, v27, s0
	s_cmp_lg_u32 s18, 4
	s_waitcnt lgkmcnt(1)
	v_lshrrev_b32_e32 v38, 4, v35
	v_and_or_b32 v39, v35, s1, 0x43004300
	v_lshrrev_b32_e32 v40, 8, v35
	v_lshrrev_b32_e32 v35, 12, v35
	v_cndmask_b32_e32 v37, v37, v28, vcc_lo
	v_and_or_b32 v38, v38, s1, 0x43004300
	v_dot2_f32_bf16 v41, v0, v39, 0
	v_dot2_f32_bf16 v39, v4, v39, 0
	v_and_or_b32 v40, v40, s1, 0x43004300
	v_and_or_b32 v35, v35, s1, 0x43004300
	s_waitcnt lgkmcnt(0)
	v_fma_f32 v33, v37, v29, v33
	v_dot2_f32_bf16 v41, v1, v38, v41
	v_dot2_f32_bf16 v38, v5, v38, v39
	v_fmac_f32_e32 v34, v37, v30
	s_delay_alu instid0(VALU_DEP_3) | instskip(NEXT) | instid1(VALU_DEP_3)
	v_dot2_f32_bf16 v39, v2, v40, v41
	v_dot2_f32_bf16 v38, v6, v40, v38
	s_delay_alu instid0(VALU_DEP_2) | instskip(NEXT) | instid1(VALU_DEP_2)
	v_dot2_f32_bf16 v37, v3, v35, v39
	v_dot2_f32_bf16 v35, v7, v35, v38
	s_delay_alu instid0(VALU_DEP_2) | instskip(NEXT) | instid1(VALU_DEP_2)
	v_fmac_f32_e32 v33, v36, v37
	v_fmac_f32_e32 v34, v36, v35
	ds_store_2addr_b32 v32, v33, v34 offset1:4
	v_add_nc_u32_e32 v32, 4, v32
	s_cbranch_scc1 .LBB5_18
; %bb.19:                               ;   in Loop: Header=BB5_13 Depth=1
	v_add_co_u32 v12, vcc_lo, v12, s2
	v_add_co_ci_u32_e32 v13, vcc_lo, s3, v13, vcc_lo
	v_dual_mov_b32 v4, s17 :: v_dual_mov_b32 v31, v17
	v_mov_b32_e32 v32, v14
	global_load_b128 v[33:36], v[12:13], off
	ds_load_b128 v[0:3], v4 offset:32
	ds_load_b128 v[4:7], v4 offset:560
	s_mov_b32 s18, 0
	s_waitcnt lgkmcnt(1)
	v_dot2_f32_bf16 v29, v0, 0x3f803f80, 0
	s_waitcnt lgkmcnt(0)
	v_dot2_f32_bf16 v30, v4, 0x3f803f80, 0
	s_delay_alu instid0(VALU_DEP_2) | instskip(NEXT) | instid1(VALU_DEP_2)
	v_dot2_f32_bf16 v29, v1, 0x3f803f80, v29
	v_dot2_f32_bf16 v30, v5, 0x3f803f80, v30
	s_delay_alu instid0(VALU_DEP_2) | instskip(NEXT) | instid1(VALU_DEP_2)
	v_dot2_f32_bf16 v29, v2, 0x3f803f80, v29
	;; [unrolled: 3-line block ×3, first 2 shown]
	v_dot2_f32_bf16 v30, v7, 0x3f803f80, v30
	s_waitcnt vmcnt(0)
	ds_store_b128 v17, v[33:36]
.LBB5_20:                               ;   Parent Loop BB5_13 Depth=1
                                        ; =>  This Inner Loop Header: Depth=2
	ds_load_b32 v35, v31
	s_cmp_eq_u32 s18, 1
	ds_load_2addr_b32 v[33:34], v32 offset1:4
	s_cselect_b32 vcc_lo, -1, 0
	s_cmp_eq_u32 s18, 2
	v_dual_cndmask_b32 v36, v21, v22 :: v_dual_add_nc_u32 v31, 4, v31
	s_cselect_b32 s0, -1, 0
	s_cmp_eq_u32 s18, 3
	s_delay_alu instid0(VALU_DEP_1) | instskip(SKIP_3) | instid1(VALU_DEP_2)
	v_cndmask_b32_e64 v36, v36, v23, s0
	v_cndmask_b32_e32 v37, v25, v26, vcc_lo
	s_cselect_b32 vcc_lo, -1, 0
	s_add_i32 s18, s18, 1
	v_cndmask_b32_e32 v36, v36, v24, vcc_lo
	s_delay_alu instid0(VALU_DEP_2)
	v_cndmask_b32_e64 v37, v37, v27, s0
	s_cmp_lg_u32 s18, 4
	s_waitcnt lgkmcnt(1)
	v_lshrrev_b32_e32 v38, 4, v35
	v_and_or_b32 v39, v35, s1, 0x43004300
	v_lshrrev_b32_e32 v40, 8, v35
	v_lshrrev_b32_e32 v35, 12, v35
	v_cndmask_b32_e32 v37, v37, v28, vcc_lo
	v_and_or_b32 v38, v38, s1, 0x43004300
	v_dot2_f32_bf16 v41, v0, v39, 0
	v_dot2_f32_bf16 v39, v4, v39, 0
	v_and_or_b32 v40, v40, s1, 0x43004300
	v_and_or_b32 v35, v35, s1, 0x43004300
	s_waitcnt lgkmcnt(0)
	v_fma_f32 v33, v37, v29, v33
	v_dot2_f32_bf16 v41, v1, v38, v41
	v_dot2_f32_bf16 v38, v5, v38, v39
	v_fmac_f32_e32 v34, v37, v30
	s_delay_alu instid0(VALU_DEP_3) | instskip(NEXT) | instid1(VALU_DEP_3)
	v_dot2_f32_bf16 v39, v2, v40, v41
	v_dot2_f32_bf16 v38, v6, v40, v38
	s_delay_alu instid0(VALU_DEP_2) | instskip(NEXT) | instid1(VALU_DEP_2)
	v_dot2_f32_bf16 v37, v3, v35, v39
	v_dot2_f32_bf16 v35, v7, v35, v38
	s_delay_alu instid0(VALU_DEP_2) | instskip(NEXT) | instid1(VALU_DEP_2)
	v_fmac_f32_e32 v33, v36, v37
	v_fmac_f32_e32 v34, v36, v35
	ds_store_2addr_b32 v32, v33, v34 offset1:4
	v_add_nc_u32_e32 v32, 4, v32
	s_cbranch_scc1 .LBB5_20
; %bb.21:                               ;   in Loop: Header=BB5_13 Depth=1
	v_add_co_u32 v0, vcc_lo, v12, s2
	v_add_co_ci_u32_e32 v1, vcc_lo, s3, v13, vcc_lo
	v_dual_mov_b32 v4, s17 :: v_dual_mov_b32 v29, v17
	v_mov_b32_e32 v30, v14
	global_load_b128 v[31:34], v[0:1], off
	ds_load_b128 v[0:3], v4 offset:48
	ds_load_b128 v[4:7], v4 offset:576
	s_mov_b32 s17, 0
	s_waitcnt lgkmcnt(1)
	v_dot2_f32_bf16 v12, v0, 0x3f803f80, 0
	s_waitcnt lgkmcnt(0)
	v_dot2_f32_bf16 v13, v4, 0x3f803f80, 0
	s_delay_alu instid0(VALU_DEP_2) | instskip(NEXT) | instid1(VALU_DEP_2)
	v_dot2_f32_bf16 v12, v1, 0x3f803f80, v12
	v_dot2_f32_bf16 v13, v5, 0x3f803f80, v13
	s_delay_alu instid0(VALU_DEP_2) | instskip(NEXT) | instid1(VALU_DEP_2)
	v_dot2_f32_bf16 v12, v2, 0x3f803f80, v12
	;; [unrolled: 3-line block ×3, first 2 shown]
	v_dot2_f32_bf16 v13, v7, 0x3f803f80, v13
	s_waitcnt vmcnt(0)
	ds_store_b128 v17, v[31:34]
.LBB5_22:                               ;   Parent Loop BB5_13 Depth=1
                                        ; =>  This Inner Loop Header: Depth=2
	ds_load_b32 v33, v29
	ds_load_2addr_b32 v[31:32], v30 offset1:4
	s_cmp_eq_u32 s17, 1
	v_add_nc_u32_e32 v29, 4, v29
	s_cselect_b32 vcc_lo, -1, 0
	s_cmp_eq_u32 s17, 2
	v_cndmask_b32_e32 v35, v25, v26, vcc_lo
	s_cselect_b32 s0, -1, 0
	s_cmp_eq_u32 s17, 3
	s_delay_alu instid0(VALU_DEP_1) | instskip(SKIP_3) | instid1(VALU_DEP_2)
	v_cndmask_b32_e64 v35, v35, v27, s0
	v_cndmask_b32_e32 v34, v21, v22, vcc_lo
	s_cselect_b32 vcc_lo, -1, 0
	s_add_i32 s17, s17, 1
	v_cndmask_b32_e32 v35, v35, v28, vcc_lo
	s_delay_alu instid0(VALU_DEP_2)
	v_cndmask_b32_e64 v34, v34, v23, s0
	s_cmp_lg_u32 s17, 4
	s_waitcnt lgkmcnt(1)
	v_lshrrev_b32_e32 v36, 4, v33
	v_and_or_b32 v37, v33, s1, 0x43004300
	v_lshrrev_b32_e32 v38, 8, v33
	v_lshrrev_b32_e32 v33, 12, v33
	v_cndmask_b32_e32 v34, v34, v24, vcc_lo
	v_and_or_b32 v36, v36, s1, 0x43004300
	v_dot2_f32_bf16 v39, v0, v37, 0
	v_dot2_f32_bf16 v37, v4, v37, 0
	v_and_or_b32 v38, v38, s1, 0x43004300
	v_and_or_b32 v33, v33, s1, 0x43004300
	s_waitcnt lgkmcnt(0)
	v_fma_f32 v31, v35, v12, v31
	v_dot2_f32_bf16 v39, v1, v36, v39
	v_dot2_f32_bf16 v36, v5, v36, v37
	v_fmac_f32_e32 v32, v35, v13
	s_delay_alu instid0(VALU_DEP_3) | instskip(NEXT) | instid1(VALU_DEP_3)
	v_dot2_f32_bf16 v37, v2, v38, v39
	v_dot2_f32_bf16 v36, v6, v38, v36
	s_delay_alu instid0(VALU_DEP_2) | instskip(NEXT) | instid1(VALU_DEP_2)
	v_dot2_f32_bf16 v35, v3, v33, v37
	v_dot2_f32_bf16 v33, v7, v33, v36
	s_delay_alu instid0(VALU_DEP_2) | instskip(NEXT) | instid1(VALU_DEP_2)
	v_fmac_f32_e32 v31, v34, v35
	v_fmac_f32_e32 v32, v34, v33
	ds_store_2addr_b32 v30, v31, v32 offset1:4
	v_add_nc_u32_e32 v30, 4, v30
	s_cbranch_scc1 .LBB5_22
; %bb.23:                               ;   in Loop: Header=BB5_13 Depth=1
	v_add_co_u32 v10, vcc_lo, v10, s4
	v_add_co_ci_u32_e32 v11, vcc_lo, s5, v11, vcc_lo
	s_add_i32 s16, s16, 32
	s_delay_alu instid0(SALU_CYCLE_1)
	s_cmp_ge_i32 s16, s21
	s_cbranch_scc0 .LBB5_13
.LBB5_24:
	v_add_co_u32 v6, vcc_lo, s6, v8
	v_add_co_ci_u32_e32 v7, vcc_lo, s7, v9, vcc_lo
	s_cmp_lt_i32 s12, s8
	s_cbranch_scc0 .LBB5_60
; %bb.25:
	ds_load_b32 v1, v14
	s_waitcnt lgkmcnt(0)
	v_and_b32_e32 v0, 0x7f800000, v1
	s_delay_alu instid0(VALU_DEP_1) | instskip(SKIP_1) | instid1(SALU_CYCLE_1)
	v_cmp_ne_u32_e32 vcc_lo, 0x7f800000, v0
                                        ; implicit-def: $vgpr0
	s_and_saveexec_b32 s0, vcc_lo
	s_xor_b32 s0, exec_lo, s0
; %bb.26:
	v_bfe_u32 v0, v1, 16, 1
	s_delay_alu instid0(VALU_DEP_1)
	v_add3_u32 v0, v1, v0, 0x7fff
                                        ; implicit-def: $vgpr1
; %bb.27:
	s_and_not1_saveexec_b32 s0, s0
; %bb.28:
	v_and_b32_e32 v0, 0xffff, v1
	v_or_b32_e32 v2, 0x10000, v1
	s_delay_alu instid0(VALU_DEP_2) | instskip(NEXT) | instid1(VALU_DEP_2)
	v_cmp_eq_u32_e32 vcc_lo, 0, v0
	v_cndmask_b32_e32 v0, v2, v1, vcc_lo
; %bb.29:
	s_or_b32 exec_lo, exec_lo, s0
	ds_load_b32 v2, v14 offset:4
	s_waitcnt lgkmcnt(0)
	v_and_b32_e32 v1, 0x7f800000, v2
	s_delay_alu instid0(VALU_DEP_1) | instskip(SKIP_1) | instid1(SALU_CYCLE_1)
	v_cmp_ne_u32_e32 vcc_lo, 0x7f800000, v1
                                        ; implicit-def: $vgpr1
	s_and_saveexec_b32 s0, vcc_lo
	s_xor_b32 s0, exec_lo, s0
; %bb.30:
	v_bfe_u32 v1, v2, 16, 1
	s_delay_alu instid0(VALU_DEP_1)
	v_add3_u32 v1, v2, v1, 0x7fff
                                        ; implicit-def: $vgpr2
; %bb.31:
	s_and_not1_saveexec_b32 s0, s0
; %bb.32:
	v_and_b32_e32 v1, 0xffff, v2
	v_or_b32_e32 v3, 0x10000, v2
	s_delay_alu instid0(VALU_DEP_2) | instskip(NEXT) | instid1(VALU_DEP_2)
	v_cmp_eq_u32_e32 vcc_lo, 0, v1
	v_cndmask_b32_e32 v1, v3, v2, vcc_lo
; %bb.33:
	s_or_b32 exec_lo, exec_lo, s0
	ds_load_b32 v2, v14 offset:8
	s_mov_b32 s0, exec_lo
                                        ; implicit-def: $vgpr8
	s_waitcnt lgkmcnt(0)
	v_and_b32_e32 v3, 0x7f800000, v2
	s_delay_alu instid0(VALU_DEP_1)
	v_cmpx_ne_u32_e32 0x7f800000, v3
	s_xor_b32 s0, exec_lo, s0
; %bb.34:
	v_bfe_u32 v3, v2, 16, 1
	s_delay_alu instid0(VALU_DEP_1)
	v_add3_u32 v8, v2, v3, 0x7fff
                                        ; implicit-def: $vgpr2
; %bb.35:
	s_and_not1_saveexec_b32 s0, s0
; %bb.36:
	v_and_b32_e32 v3, 0xffff, v2
	v_or_b32_e32 v4, 0x10000, v2
	s_delay_alu instid0(VALU_DEP_2) | instskip(NEXT) | instid1(VALU_DEP_2)
	v_cmp_eq_u32_e32 vcc_lo, 0, v3
	v_cndmask_b32_e32 v8, v4, v2, vcc_lo
; %bb.37:
	s_or_b32 exec_lo, exec_lo, s0
	ds_load_b32 v2, v14 offset:12
	s_mov_b32 s0, exec_lo
                                        ; implicit-def: $vgpr11
	s_waitcnt lgkmcnt(0)
	v_and_b32_e32 v3, 0x7f800000, v2
	s_delay_alu instid0(VALU_DEP_1)
	v_cmpx_ne_u32_e32 0x7f800000, v3
	s_xor_b32 s0, exec_lo, s0
; %bb.38:
	v_bfe_u32 v3, v2, 16, 1
	s_delay_alu instid0(VALU_DEP_1)
	v_add3_u32 v11, v2, v3, 0x7fff
                                        ; implicit-def: $vgpr2
; %bb.39:
	s_and_not1_saveexec_b32 s0, s0
; %bb.40:
	v_and_b32_e32 v3, 0xffff, v2
	v_or_b32_e32 v4, 0x10000, v2
	s_delay_alu instid0(VALU_DEP_2) | instskip(NEXT) | instid1(VALU_DEP_2)
	v_cmp_eq_u32_e32 vcc_lo, 0, v3
	v_cndmask_b32_e32 v11, v4, v2, vcc_lo
; %bb.41:
	s_or_b32 exec_lo, exec_lo, s0
	s_mul_i32 s0, s12, s9
	v_and_b32_e32 v8, 0xffff0000, v8
	s_ashr_i32 s1, s0, 31
	v_and_b32_e32 v9, 0xffff0000, v1
	s_lshl_b64 s[0:1], s[0:1], 1
	v_and_b32_e32 v10, 0xffff0000, v0
	v_add_co_u32 v4, vcc_lo, v6, s0
	v_add_co_ci_u32_e32 v5, vcc_lo, s1, v7, vcc_lo
	v_and_b32_e32 v11, 0xffff0000, v11
	s_mov_b32 s0, 0
	global_load_b64 v[2:3], v[4:5], off
	s_branch .LBB5_43
.LBB5_42:                               ;   in Loop: Header=BB5_43 Depth=1
	s_or_b32 exec_lo, exec_lo, s1
	v_lshrrev_b32_e32 v1, 16, v1
	s_delay_alu instid0(VALU_DEP_2) | instskip(SKIP_1) | instid1(VALU_DEP_2)
	v_and_b32_e32 v13, 0xffff0000, v15
	v_lshrrev_b32_e32 v0, 16, v0
	v_or_b32_e32 v1, v13, v1
	s_delay_alu instid0(VALU_DEP_2)
	v_and_or_b32 v0, 0xffff0000, v12, v0
	global_atomic_cmpswap_b64 v[0:1], v[4:5], v[0:3], off glc
	s_waitcnt vmcnt(0)
	v_cmp_eq_u64_e32 vcc_lo, v[0:1], v[2:3]
	v_dual_mov_b32 v3, v1 :: v_dual_mov_b32 v2, v0
	s_or_b32 s0, vcc_lo, s0
	s_delay_alu instid0(SALU_CYCLE_1)
	s_and_not1_b32 exec_lo, exec_lo, s0
	s_cbranch_execz .LBB5_59
.LBB5_43:                               ; =>This Inner Loop Header: Depth=1
	s_waitcnt vmcnt(0)
	v_lshlrev_b32_e32 v0, 16, v2
	s_delay_alu instid0(VALU_DEP_1) | instskip(NEXT) | instid1(VALU_DEP_1)
	v_add_f32_e32 v1, v10, v0
	v_and_b32_e32 v0, 0x7f800000, v1
	s_delay_alu instid0(VALU_DEP_1) | instskip(SKIP_1) | instid1(SALU_CYCLE_1)
	v_cmp_ne_u32_e32 vcc_lo, 0x7f800000, v0
                                        ; implicit-def: $vgpr0
	s_and_saveexec_b32 s1, vcc_lo
	s_xor_b32 s1, exec_lo, s1
; %bb.44:                               ;   in Loop: Header=BB5_43 Depth=1
	v_bfe_u32 v0, v1, 16, 1
	s_delay_alu instid0(VALU_DEP_1)
	v_add3_u32 v0, v1, v0, 0x7fff
                                        ; implicit-def: $vgpr1
; %bb.45:                               ;   in Loop: Header=BB5_43 Depth=1
	s_and_not1_saveexec_b32 s1, s1
; %bb.46:                               ;   in Loop: Header=BB5_43 Depth=1
	v_and_b32_e32 v0, 0xffff, v1
	v_or_b32_e32 v12, 0x10000, v1
	s_delay_alu instid0(VALU_DEP_2) | instskip(NEXT) | instid1(VALU_DEP_2)
	v_cmp_eq_u32_e32 vcc_lo, 0, v0
	v_cndmask_b32_e32 v0, v12, v1, vcc_lo
; %bb.47:                               ;   in Loop: Header=BB5_43 Depth=1
	s_or_b32 exec_lo, exec_lo, s1
	v_and_b32_e32 v1, 0xffff0000, v2
	s_delay_alu instid0(VALU_DEP_1) | instskip(NEXT) | instid1(VALU_DEP_1)
	v_add_f32_e32 v1, v9, v1
	v_and_b32_e32 v12, 0x7f800000, v1
	s_delay_alu instid0(VALU_DEP_1) | instskip(SKIP_1) | instid1(SALU_CYCLE_1)
	v_cmp_ne_u32_e32 vcc_lo, 0x7f800000, v12
                                        ; implicit-def: $vgpr12
	s_and_saveexec_b32 s1, vcc_lo
	s_xor_b32 s1, exec_lo, s1
; %bb.48:                               ;   in Loop: Header=BB5_43 Depth=1
	v_bfe_u32 v12, v1, 16, 1
	s_delay_alu instid0(VALU_DEP_1)
	v_add3_u32 v12, v1, v12, 0x7fff
                                        ; implicit-def: $vgpr1
; %bb.49:                               ;   in Loop: Header=BB5_43 Depth=1
	s_and_not1_saveexec_b32 s1, s1
; %bb.50:                               ;   in Loop: Header=BB5_43 Depth=1
	v_and_b32_e32 v12, 0xffff, v1
	v_or_b32_e32 v13, 0x10000, v1
	s_delay_alu instid0(VALU_DEP_2) | instskip(NEXT) | instid1(VALU_DEP_2)
	v_cmp_eq_u32_e32 vcc_lo, 0, v12
	v_cndmask_b32_e32 v12, v13, v1, vcc_lo
; %bb.51:                               ;   in Loop: Header=BB5_43 Depth=1
	s_or_b32 exec_lo, exec_lo, s1
	v_alignbit_b32 v1, v3, v2, 16
	s_delay_alu instid0(VALU_DEP_1) | instskip(NEXT) | instid1(VALU_DEP_1)
	v_and_b32_e32 v1, 0xffff0000, v1
	v_add_f32_e32 v13, v8, v1
	s_delay_alu instid0(VALU_DEP_1) | instskip(NEXT) | instid1(VALU_DEP_1)
	v_and_b32_e32 v1, 0x7f800000, v13
	v_cmp_ne_u32_e32 vcc_lo, 0x7f800000, v1
                                        ; implicit-def: $vgpr1
	s_and_saveexec_b32 s1, vcc_lo
	s_delay_alu instid0(SALU_CYCLE_1)
	s_xor_b32 s1, exec_lo, s1
; %bb.52:                               ;   in Loop: Header=BB5_43 Depth=1
	v_bfe_u32 v1, v13, 16, 1
	s_delay_alu instid0(VALU_DEP_1)
	v_add3_u32 v1, v13, v1, 0x7fff
                                        ; implicit-def: $vgpr13
; %bb.53:                               ;   in Loop: Header=BB5_43 Depth=1
	s_and_not1_saveexec_b32 s1, s1
; %bb.54:                               ;   in Loop: Header=BB5_43 Depth=1
	v_and_b32_e32 v1, 0xffff, v13
	v_or_b32_e32 v15, 0x10000, v13
	s_delay_alu instid0(VALU_DEP_2) | instskip(NEXT) | instid1(VALU_DEP_2)
	v_cmp_eq_u32_e32 vcc_lo, 0, v1
	v_cndmask_b32_e32 v1, v15, v13, vcc_lo
; %bb.55:                               ;   in Loop: Header=BB5_43 Depth=1
	s_or_b32 exec_lo, exec_lo, s1
	v_and_b32_e32 v13, 0xffff0000, v3
	s_delay_alu instid0(VALU_DEP_1) | instskip(NEXT) | instid1(VALU_DEP_1)
	v_add_f32_e32 v13, v11, v13
	v_and_b32_e32 v15, 0x7f800000, v13
	s_delay_alu instid0(VALU_DEP_1) | instskip(SKIP_1) | instid1(SALU_CYCLE_1)
	v_cmp_ne_u32_e32 vcc_lo, 0x7f800000, v15
                                        ; implicit-def: $vgpr15
	s_and_saveexec_b32 s1, vcc_lo
	s_xor_b32 s1, exec_lo, s1
; %bb.56:                               ;   in Loop: Header=BB5_43 Depth=1
	v_bfe_u32 v15, v13, 16, 1
	s_delay_alu instid0(VALU_DEP_1)
	v_add3_u32 v15, v13, v15, 0x7fff
                                        ; implicit-def: $vgpr13
; %bb.57:                               ;   in Loop: Header=BB5_43 Depth=1
	s_and_not1_saveexec_b32 s1, s1
	s_cbranch_execz .LBB5_42
; %bb.58:                               ;   in Loop: Header=BB5_43 Depth=1
	v_and_b32_e32 v15, 0xffff, v13
	v_or_b32_e32 v16, 0x10000, v13
	s_delay_alu instid0(VALU_DEP_2) | instskip(NEXT) | instid1(VALU_DEP_2)
	v_cmp_eq_u32_e32 vcc_lo, 0, v15
	v_cndmask_b32_e32 v15, v16, v13, vcc_lo
	s_branch .LBB5_42
.LBB5_59:
	s_or_b32 exec_lo, exec_lo, s0
.LBB5_60:
	s_or_b32 s0, s12, 1
	s_delay_alu instid0(SALU_CYCLE_1)
	s_cmp_ge_i32 s0, s8
	s_cbranch_scc1 .LBB5_95
; %bb.61:
	ds_load_b32 v1, v14 offset:16
	s_waitcnt lgkmcnt(0)
	v_and_b32_e32 v0, 0x7f800000, v1
	s_delay_alu instid0(VALU_DEP_1) | instskip(SKIP_1) | instid1(SALU_CYCLE_1)
	v_cmp_ne_u32_e32 vcc_lo, 0x7f800000, v0
                                        ; implicit-def: $vgpr0
	s_and_saveexec_b32 s1, vcc_lo
	s_xor_b32 s1, exec_lo, s1
; %bb.62:
	v_bfe_u32 v0, v1, 16, 1
	s_delay_alu instid0(VALU_DEP_1)
	v_add3_u32 v0, v1, v0, 0x7fff
                                        ; implicit-def: $vgpr1
; %bb.63:
	s_and_not1_saveexec_b32 s1, s1
; %bb.64:
	v_and_b32_e32 v0, 0xffff, v1
	v_or_b32_e32 v2, 0x10000, v1
	s_delay_alu instid0(VALU_DEP_2) | instskip(NEXT) | instid1(VALU_DEP_2)
	v_cmp_eq_u32_e32 vcc_lo, 0, v0
	v_cndmask_b32_e32 v0, v2, v1, vcc_lo
; %bb.65:
	s_or_b32 exec_lo, exec_lo, s1
	ds_load_b32 v2, v14 offset:20
	s_waitcnt lgkmcnt(0)
	v_and_b32_e32 v1, 0x7f800000, v2
	s_delay_alu instid0(VALU_DEP_1) | instskip(SKIP_1) | instid1(SALU_CYCLE_1)
	v_cmp_ne_u32_e32 vcc_lo, 0x7f800000, v1
                                        ; implicit-def: $vgpr1
	s_and_saveexec_b32 s1, vcc_lo
	s_xor_b32 s1, exec_lo, s1
; %bb.66:
	v_bfe_u32 v1, v2, 16, 1
	s_delay_alu instid0(VALU_DEP_1)
	v_add3_u32 v1, v2, v1, 0x7fff
                                        ; implicit-def: $vgpr2
; %bb.67:
	s_and_not1_saveexec_b32 s1, s1
; %bb.68:
	v_and_b32_e32 v1, 0xffff, v2
	v_or_b32_e32 v3, 0x10000, v2
	s_delay_alu instid0(VALU_DEP_2) | instskip(NEXT) | instid1(VALU_DEP_2)
	v_cmp_eq_u32_e32 vcc_lo, 0, v1
	v_cndmask_b32_e32 v1, v3, v2, vcc_lo
; %bb.69:
	s_or_b32 exec_lo, exec_lo, s1
	ds_load_b32 v2, v14 offset:24
	s_mov_b32 s1, exec_lo
                                        ; implicit-def: $vgpr8
	s_waitcnt lgkmcnt(0)
	v_and_b32_e32 v3, 0x7f800000, v2
	s_delay_alu instid0(VALU_DEP_1)
	v_cmpx_ne_u32_e32 0x7f800000, v3
	s_xor_b32 s1, exec_lo, s1
; %bb.70:
	v_bfe_u32 v3, v2, 16, 1
	s_delay_alu instid0(VALU_DEP_1)
	v_add3_u32 v8, v2, v3, 0x7fff
                                        ; implicit-def: $vgpr2
; %bb.71:
	s_and_not1_saveexec_b32 s1, s1
; %bb.72:
	v_and_b32_e32 v3, 0xffff, v2
	v_or_b32_e32 v4, 0x10000, v2
	s_delay_alu instid0(VALU_DEP_2) | instskip(NEXT) | instid1(VALU_DEP_2)
	v_cmp_eq_u32_e32 vcc_lo, 0, v3
	v_cndmask_b32_e32 v8, v4, v2, vcc_lo
; %bb.73:
	s_or_b32 exec_lo, exec_lo, s1
	ds_load_b32 v2, v14 offset:28
	s_mov_b32 s1, exec_lo
                                        ; implicit-def: $vgpr9
	s_waitcnt lgkmcnt(0)
	v_and_b32_e32 v3, 0x7f800000, v2
	s_delay_alu instid0(VALU_DEP_1)
	v_cmpx_ne_u32_e32 0x7f800000, v3
	s_xor_b32 s1, exec_lo, s1
; %bb.74:
	v_bfe_u32 v3, v2, 16, 1
	s_delay_alu instid0(VALU_DEP_1)
	v_add3_u32 v9, v2, v3, 0x7fff
                                        ; implicit-def: $vgpr2
; %bb.75:
	s_and_not1_saveexec_b32 s1, s1
; %bb.76:
	v_and_b32_e32 v3, 0xffff, v2
	v_or_b32_e32 v4, 0x10000, v2
	s_delay_alu instid0(VALU_DEP_2) | instskip(NEXT) | instid1(VALU_DEP_2)
	v_cmp_eq_u32_e32 vcc_lo, 0, v3
	v_cndmask_b32_e32 v9, v4, v2, vcc_lo
; %bb.77:
	s_or_b32 exec_lo, exec_lo, s1
	s_mul_i32 s0, s0, s9
	s_delay_alu instid0(VALU_DEP_1) | instskip(SKIP_1) | instid1(SALU_CYCLE_1)
	v_and_b32_e32 v9, 0xffff0000, v9
	s_ashr_i32 s1, s0, 31
	s_lshl_b64 s[0:1], s[0:1], 1
	s_delay_alu instid0(SALU_CYCLE_1)
	v_add_co_u32 v4, vcc_lo, v6, s0
	v_add_co_ci_u32_e32 v5, vcc_lo, s1, v7, vcc_lo
	v_and_b32_e32 v6, 0xffff0000, v8
	v_and_b32_e32 v7, 0xffff0000, v1
	;; [unrolled: 1-line block ×3, first 2 shown]
	global_load_b64 v[2:3], v[4:5], off
	s_mov_b32 s0, 0
	s_branch .LBB5_79
.LBB5_78:                               ;   in Loop: Header=BB5_79 Depth=1
	s_or_b32 exec_lo, exec_lo, s1
	v_lshrrev_b32_e32 v1, 16, v1
	s_delay_alu instid0(VALU_DEP_2) | instskip(SKIP_1) | instid1(VALU_DEP_2)
	v_and_b32_e32 v11, 0xffff0000, v12
	v_lshrrev_b32_e32 v0, 16, v0
	v_or_b32_e32 v1, v11, v1
	s_delay_alu instid0(VALU_DEP_2)
	v_and_or_b32 v0, 0xffff0000, v10, v0
	global_atomic_cmpswap_b64 v[0:1], v[4:5], v[0:3], off glc
	s_waitcnt vmcnt(0)
	v_cmp_eq_u64_e32 vcc_lo, v[0:1], v[2:3]
	v_dual_mov_b32 v3, v1 :: v_dual_mov_b32 v2, v0
	s_or_b32 s0, vcc_lo, s0
	s_delay_alu instid0(SALU_CYCLE_1)
	s_and_not1_b32 exec_lo, exec_lo, s0
	s_cbranch_execz .LBB5_95
.LBB5_79:                               ; =>This Inner Loop Header: Depth=1
	s_waitcnt vmcnt(0)
	v_lshlrev_b32_e32 v0, 16, v2
	s_delay_alu instid0(VALU_DEP_1) | instskip(NEXT) | instid1(VALU_DEP_1)
	v_add_f32_e32 v1, v8, v0
	v_and_b32_e32 v0, 0x7f800000, v1
	s_delay_alu instid0(VALU_DEP_1) | instskip(SKIP_1) | instid1(SALU_CYCLE_1)
	v_cmp_ne_u32_e32 vcc_lo, 0x7f800000, v0
                                        ; implicit-def: $vgpr0
	s_and_saveexec_b32 s1, vcc_lo
	s_xor_b32 s1, exec_lo, s1
; %bb.80:                               ;   in Loop: Header=BB5_79 Depth=1
	v_bfe_u32 v0, v1, 16, 1
	s_delay_alu instid0(VALU_DEP_1)
	v_add3_u32 v0, v1, v0, 0x7fff
                                        ; implicit-def: $vgpr1
; %bb.81:                               ;   in Loop: Header=BB5_79 Depth=1
	s_and_not1_saveexec_b32 s1, s1
; %bb.82:                               ;   in Loop: Header=BB5_79 Depth=1
	v_and_b32_e32 v0, 0xffff, v1
	v_or_b32_e32 v10, 0x10000, v1
	s_delay_alu instid0(VALU_DEP_2) | instskip(NEXT) | instid1(VALU_DEP_2)
	v_cmp_eq_u32_e32 vcc_lo, 0, v0
	v_cndmask_b32_e32 v0, v10, v1, vcc_lo
; %bb.83:                               ;   in Loop: Header=BB5_79 Depth=1
	s_or_b32 exec_lo, exec_lo, s1
	v_and_b32_e32 v1, 0xffff0000, v2
	s_delay_alu instid0(VALU_DEP_1) | instskip(NEXT) | instid1(VALU_DEP_1)
	v_add_f32_e32 v1, v7, v1
	v_and_b32_e32 v10, 0x7f800000, v1
	s_delay_alu instid0(VALU_DEP_1) | instskip(SKIP_1) | instid1(SALU_CYCLE_1)
	v_cmp_ne_u32_e32 vcc_lo, 0x7f800000, v10
                                        ; implicit-def: $vgpr10
	s_and_saveexec_b32 s1, vcc_lo
	s_xor_b32 s1, exec_lo, s1
; %bb.84:                               ;   in Loop: Header=BB5_79 Depth=1
	v_bfe_u32 v10, v1, 16, 1
	s_delay_alu instid0(VALU_DEP_1)
	v_add3_u32 v10, v1, v10, 0x7fff
                                        ; implicit-def: $vgpr1
; %bb.85:                               ;   in Loop: Header=BB5_79 Depth=1
	s_and_not1_saveexec_b32 s1, s1
; %bb.86:                               ;   in Loop: Header=BB5_79 Depth=1
	v_and_b32_e32 v10, 0xffff, v1
	v_or_b32_e32 v11, 0x10000, v1
	s_delay_alu instid0(VALU_DEP_2) | instskip(NEXT) | instid1(VALU_DEP_2)
	v_cmp_eq_u32_e32 vcc_lo, 0, v10
	v_cndmask_b32_e32 v10, v11, v1, vcc_lo
; %bb.87:                               ;   in Loop: Header=BB5_79 Depth=1
	s_or_b32 exec_lo, exec_lo, s1
	v_alignbit_b32 v1, v3, v2, 16
	s_delay_alu instid0(VALU_DEP_1) | instskip(NEXT) | instid1(VALU_DEP_1)
	v_and_b32_e32 v1, 0xffff0000, v1
	v_add_f32_e32 v11, v6, v1
	s_delay_alu instid0(VALU_DEP_1) | instskip(NEXT) | instid1(VALU_DEP_1)
	v_and_b32_e32 v1, 0x7f800000, v11
	v_cmp_ne_u32_e32 vcc_lo, 0x7f800000, v1
                                        ; implicit-def: $vgpr1
	s_and_saveexec_b32 s1, vcc_lo
	s_delay_alu instid0(SALU_CYCLE_1)
	s_xor_b32 s1, exec_lo, s1
; %bb.88:                               ;   in Loop: Header=BB5_79 Depth=1
	v_bfe_u32 v1, v11, 16, 1
	s_delay_alu instid0(VALU_DEP_1)
	v_add3_u32 v1, v11, v1, 0x7fff
                                        ; implicit-def: $vgpr11
; %bb.89:                               ;   in Loop: Header=BB5_79 Depth=1
	s_and_not1_saveexec_b32 s1, s1
; %bb.90:                               ;   in Loop: Header=BB5_79 Depth=1
	v_and_b32_e32 v1, 0xffff, v11
	v_or_b32_e32 v12, 0x10000, v11
	s_delay_alu instid0(VALU_DEP_2) | instskip(NEXT) | instid1(VALU_DEP_2)
	v_cmp_eq_u32_e32 vcc_lo, 0, v1
	v_cndmask_b32_e32 v1, v12, v11, vcc_lo
; %bb.91:                               ;   in Loop: Header=BB5_79 Depth=1
	s_or_b32 exec_lo, exec_lo, s1
	v_and_b32_e32 v11, 0xffff0000, v3
	s_delay_alu instid0(VALU_DEP_1) | instskip(NEXT) | instid1(VALU_DEP_1)
	v_add_f32_e32 v11, v9, v11
	v_and_b32_e32 v12, 0x7f800000, v11
	s_delay_alu instid0(VALU_DEP_1) | instskip(SKIP_1) | instid1(SALU_CYCLE_1)
	v_cmp_ne_u32_e32 vcc_lo, 0x7f800000, v12
                                        ; implicit-def: $vgpr12
	s_and_saveexec_b32 s1, vcc_lo
	s_xor_b32 s1, exec_lo, s1
; %bb.92:                               ;   in Loop: Header=BB5_79 Depth=1
	v_bfe_u32 v12, v11, 16, 1
	s_delay_alu instid0(VALU_DEP_1)
	v_add3_u32 v12, v11, v12, 0x7fff
                                        ; implicit-def: $vgpr11
; %bb.93:                               ;   in Loop: Header=BB5_79 Depth=1
	s_and_not1_saveexec_b32 s1, s1
	s_cbranch_execz .LBB5_78
; %bb.94:                               ;   in Loop: Header=BB5_79 Depth=1
	v_and_b32_e32 v12, 0xffff, v11
	v_or_b32_e32 v13, 0x10000, v11
	s_delay_alu instid0(VALU_DEP_2) | instskip(NEXT) | instid1(VALU_DEP_2)
	v_cmp_eq_u32_e32 vcc_lo, 0, v12
	v_cndmask_b32_e32 v12, v13, v11, vcc_lo
	s_branch .LBB5_78
.LBB5_95:
	s_endpgm
	.section	.rodata,"a",@progbits
	.p2align	6, 0x0
	.amdhsa_kernel _ZN4vllm10gptq_rdna320gemm_q4_kernel_rdna3I14__hip_bfloat16Li2EEEvPKT_PKjS7_S5_PS3_iiiiiPKi
		.amdhsa_group_segment_fixed_size 50208
		.amdhsa_private_segment_fixed_size 0
		.amdhsa_kernarg_size 72
		.amdhsa_user_sgpr_count 13
		.amdhsa_user_sgpr_dispatch_ptr 1
		.amdhsa_user_sgpr_queue_ptr 0
		.amdhsa_user_sgpr_kernarg_segment_ptr 1
		.amdhsa_user_sgpr_dispatch_id 0
		.amdhsa_user_sgpr_private_segment_size 0
		.amdhsa_wavefront_size32 1
		.amdhsa_uses_dynamic_stack 0
		.amdhsa_enable_private_segment 0
		.amdhsa_system_sgpr_workgroup_id_x 1
		.amdhsa_system_sgpr_workgroup_id_y 1
		.amdhsa_system_sgpr_workgroup_id_z 1
		.amdhsa_system_sgpr_workgroup_info 0
		.amdhsa_system_vgpr_workitem_id 2
		.amdhsa_next_free_vgpr 42
		.amdhsa_next_free_sgpr 28
		.amdhsa_reserve_vcc 1
		.amdhsa_float_round_mode_32 0
		.amdhsa_float_round_mode_16_64 0
		.amdhsa_float_denorm_mode_32 3
		.amdhsa_float_denorm_mode_16_64 3
		.amdhsa_dx10_clamp 1
		.amdhsa_ieee_mode 1
		.amdhsa_fp16_overflow 0
		.amdhsa_workgroup_processor_mode 1
		.amdhsa_memory_ordered 1
		.amdhsa_forward_progress 0
		.amdhsa_shared_vgpr_count 0
		.amdhsa_exception_fp_ieee_invalid_op 0
		.amdhsa_exception_fp_denorm_src 0
		.amdhsa_exception_fp_ieee_div_zero 0
		.amdhsa_exception_fp_ieee_overflow 0
		.amdhsa_exception_fp_ieee_underflow 0
		.amdhsa_exception_fp_ieee_inexact 0
		.amdhsa_exception_int_div_zero 0
	.end_amdhsa_kernel
	.section	.text._ZN4vllm10gptq_rdna320gemm_q4_kernel_rdna3I14__hip_bfloat16Li2EEEvPKT_PKjS7_S5_PS3_iiiiiPKi,"axG",@progbits,_ZN4vllm10gptq_rdna320gemm_q4_kernel_rdna3I14__hip_bfloat16Li2EEEvPKT_PKjS7_S5_PS3_iiiiiPKi,comdat
.Lfunc_end5:
	.size	_ZN4vllm10gptq_rdna320gemm_q4_kernel_rdna3I14__hip_bfloat16Li2EEEvPKT_PKjS7_S5_PS3_iiiiiPKi, .Lfunc_end5-_ZN4vllm10gptq_rdna320gemm_q4_kernel_rdna3I14__hip_bfloat16Li2EEEvPKT_PKjS7_S5_PS3_iiiiiPKi
                                        ; -- End function
	.section	.AMDGPU.csdata,"",@progbits
; Kernel info:
; codeLenInByte = 5408
; NumSgprs: 30
; NumVgprs: 42
; ScratchSize: 0
; MemoryBound: 0
; FloatMode: 240
; IeeeMode: 1
; LDSByteSize: 50208 bytes/workgroup (compile time only)
; SGPRBlocks: 3
; VGPRBlocks: 5
; NumSGPRsForWavesPerEU: 30
; NumVGPRsForWavesPerEU: 42
; Occupancy: 16
; WaveLimiterHint : 0
; COMPUTE_PGM_RSRC2:SCRATCH_EN: 0
; COMPUTE_PGM_RSRC2:USER_SGPR: 13
; COMPUTE_PGM_RSRC2:TRAP_HANDLER: 0
; COMPUTE_PGM_RSRC2:TGID_X_EN: 1
; COMPUTE_PGM_RSRC2:TGID_Y_EN: 1
; COMPUTE_PGM_RSRC2:TGID_Z_EN: 1
; COMPUTE_PGM_RSRC2:TIDIG_COMP_CNT: 2
	.section	.text._ZN4vllm10gptq_rdna320gemm_q4_kernel_rdna3I14__hip_bfloat16Li4EEEvPKT_PKjS7_S5_PS3_iiiiiPKi,"axG",@progbits,_ZN4vllm10gptq_rdna320gemm_q4_kernel_rdna3I14__hip_bfloat16Li4EEEvPKT_PKjS7_S5_PS3_iiiiiPKi,comdat
	.protected	_ZN4vllm10gptq_rdna320gemm_q4_kernel_rdna3I14__hip_bfloat16Li4EEEvPKT_PKjS7_S5_PS3_iiiiiPKi ; -- Begin function _ZN4vllm10gptq_rdna320gemm_q4_kernel_rdna3I14__hip_bfloat16Li4EEEvPKT_PKjS7_S5_PS3_iiiiiPKi
	.globl	_ZN4vllm10gptq_rdna320gemm_q4_kernel_rdna3I14__hip_bfloat16Li4EEEvPKT_PKjS7_S5_PS3_iiiiiPKi
	.p2align	8
	.type	_ZN4vllm10gptq_rdna320gemm_q4_kernel_rdna3I14__hip_bfloat16Li4EEEvPKT_PKjS7_S5_PS3_iiiiiPKi,@function
_ZN4vllm10gptq_rdna320gemm_q4_kernel_rdna3I14__hip_bfloat16Li4EEEvPKT_PKjS7_S5_PS3_iiiiiPKi: ; @_ZN4vllm10gptq_rdna320gemm_q4_kernel_rdna3I14__hip_bfloat16Li4EEEvPKT_PKjS7_S5_PS3_iiiiiPKi
; %bb.0:
	s_clause 0x2
	s_load_b256 s[4:11], s[2:3], 0x18
	s_load_b128 s[16:19], s[2:3], 0x8
	s_load_b32 s20, s[2:3], 0x38
	v_and_b32_e32 v7, 0x3ff, v0
	s_lshl_b32 s15, s15, 8
	s_delay_alu instid0(SALU_CYCLE_1) | instskip(NEXT) | instid1(VALU_DEP_1)
	s_add_i32 s12, s15, 0x100
	v_add_nc_u32_e32 v1, s15, v7
	s_waitcnt lgkmcnt(0)
	s_min_i32 s21, s12, s10
	s_lshl_b32 s12, s14, 2
	s_mov_b32 s14, exec_lo
	v_cmpx_gt_i32_e64 s21, v1
	s_cbranch_execz .LBB6_18
; %bb.1:
	s_clause 0x1
	s_load_b64 s[24:25], s[2:3], 0x40
	s_load_b64 s[2:3], s[2:3], 0x0
	v_ashrrev_i32_e32 v2, 31, v1
	v_mov_b32_e32 v5, 0
	s_delay_alu instid0(VALU_DEP_2) | instskip(SKIP_2) | instid1(VALU_DEP_1)
	v_lshlrev_b64 v[3:4], 2, v[1:2]
	s_waitcnt lgkmcnt(0)
	s_cmp_lg_u64 s[24:25], 0
	v_add_co_u32 v3, vcc_lo, s24, v3
	s_cselect_b32 s22, -1, 0
	s_delay_alu instid0(VALU_DEP_2) | instskip(SKIP_2) | instid1(VALU_DEP_1)
	v_add_co_ci_u32_e32 v4, vcc_lo, s25, v4, vcc_lo
	v_cndmask_b32_e64 v8, 0, 1, s22
	s_cmp_ge_i32 s12, s8
	v_cmp_ne_u32_e32 vcc_lo, 1, v8
	s_cbranch_scc1 .LBB6_5
; %bb.2:
	v_dual_mov_b32 v6, v2 :: v_dual_mov_b32 v5, v1
	s_and_b32 vcc_lo, exec_lo, vcc_lo
	s_cbranch_vccnz .LBB6_4
; %bb.3:
	global_load_b32 v5, v[3:4], off
	s_waitcnt vmcnt(0)
	v_ashrrev_i32_e32 v6, 31, v5
.LBB6_4:
	s_mul_i32 s24, s12, s10
	s_delay_alu instid0(VALU_DEP_1) | instskip(SKIP_1) | instid1(SALU_CYCLE_1)
	v_lshlrev_b64 v[5:6], 1, v[5:6]
	s_ashr_i32 s25, s24, 31
	s_lshl_b64 s[24:25], s[24:25], 1
	s_delay_alu instid0(SALU_CYCLE_1) | instskip(SKIP_1) | instid1(VALU_DEP_1)
	s_add_u32 s23, s2, s24
	s_addc_u32 s24, s3, s25
	v_add_co_u32 v5, vcc_lo, s23, v5
	v_add_co_ci_u32_e32 v6, vcc_lo, s24, v6, vcc_lo
	global_load_u16 v5, v[5:6], off
.LBB6_5:
	v_dual_mov_b32 v6, 0 :: v_dual_lshlrev_b32 v9, 1, v7
	s_or_b32 s23, s12, 1
	s_delay_alu instid0(SALU_CYCLE_1)
	s_cmp_ge_i32 s23, s8
	s_waitcnt vmcnt(0)
	ds_store_b16 v9, v5
	s_cbranch_scc1 .LBB6_9
; %bb.6:
	v_dual_mov_b32 v6, v2 :: v_dual_mov_b32 v5, v1
	s_and_not1_b32 vcc_lo, exec_lo, s22
	s_cbranch_vccnz .LBB6_8
; %bb.7:
	global_load_b32 v5, v[3:4], off
	s_waitcnt vmcnt(0)
	v_ashrrev_i32_e32 v6, 31, v5
.LBB6_8:
	s_mul_i32 s22, s23, s10
	s_delay_alu instid0(VALU_DEP_1) | instskip(SKIP_1) | instid1(SALU_CYCLE_1)
	v_lshlrev_b64 v[5:6], 1, v[5:6]
	s_ashr_i32 s23, s22, 31
	s_lshl_b64 s[22:23], s[22:23], 1
	s_delay_alu instid0(SALU_CYCLE_1) | instskip(SKIP_1) | instid1(VALU_DEP_1)
	s_add_u32 s22, s2, s22
	s_addc_u32 s23, s3, s23
	v_add_co_u32 v5, vcc_lo, s22, v5
	v_add_co_ci_u32_e32 v6, vcc_lo, s23, v6, vcc_lo
	global_load_u16 v6, v[5:6], off
.LBB6_9:
	v_mov_b32_e32 v5, 0
	s_or_b32 s22, s12, 2
	s_waitcnt vmcnt(0)
	ds_store_b16 v9, v6 offset:528
	s_cmp_ge_i32 s22, s8
	s_cbranch_scc1 .LBB6_13
; %bb.10:
	v_cmp_ne_u32_e32 vcc_lo, 1, v8
	v_dual_mov_b32 v6, v2 :: v_dual_mov_b32 v5, v1
	s_cbranch_vccnz .LBB6_12
; %bb.11:
	global_load_b32 v5, v[3:4], off
	s_waitcnt vmcnt(0)
	v_ashrrev_i32_e32 v6, 31, v5
.LBB6_12:
	s_mul_i32 s22, s22, s10
	s_delay_alu instid0(VALU_DEP_1) | instskip(SKIP_1) | instid1(SALU_CYCLE_1)
	v_lshlrev_b64 v[5:6], 1, v[5:6]
	s_ashr_i32 s23, s22, 31
	s_lshl_b64 s[22:23], s[22:23], 1
	s_delay_alu instid0(SALU_CYCLE_1) | instskip(SKIP_1) | instid1(VALU_DEP_1)
	s_add_u32 s22, s2, s22
	s_addc_u32 s23, s3, s23
	v_add_co_u32 v5, vcc_lo, s22, v5
	v_add_co_ci_u32_e32 v6, vcc_lo, s23, v6, vcc_lo
	global_load_u16 v5, v[5:6], off
.LBB6_13:
	v_mov_b32_e32 v6, 0
	s_or_b32 s22, s12, 3
	s_waitcnt vmcnt(0)
	ds_store_b16 v9, v5 offset:1056
	s_cmp_ge_i32 s22, s8
	s_cbranch_scc1 .LBB6_17
; %bb.14:
	v_cmp_ne_u32_e32 vcc_lo, 1, v8
	s_cbranch_vccnz .LBB6_16
; %bb.15:
	global_load_b32 v1, v[3:4], off
	s_waitcnt vmcnt(0)
	v_ashrrev_i32_e32 v2, 31, v1
.LBB6_16:
	s_mul_i32 s22, s22, s10
	s_delay_alu instid0(VALU_DEP_1) | instskip(SKIP_1) | instid1(SALU_CYCLE_1)
	v_lshlrev_b64 v[1:2], 1, v[1:2]
	s_ashr_i32 s23, s22, 31
	s_lshl_b64 s[22:23], s[22:23], 1
	s_delay_alu instid0(SALU_CYCLE_1) | instskip(SKIP_1) | instid1(VALU_DEP_1)
	s_add_u32 s2, s2, s22
	s_addc_u32 s3, s3, s23
	v_add_co_u32 v1, vcc_lo, s2, v1
	v_add_co_ci_u32_e32 v2, vcc_lo, s3, v2, vcc_lo
	global_load_u16 v6, v[1:2], off
.LBB6_17:
	s_waitcnt vmcnt(0)
	ds_store_b16 v9, v6 offset:1584
.LBB6_18:
	s_or_b32 exec_lo, exec_lo, s14
	v_lshlrev_b32_e32 v1, 2, v7
	s_waitcnt lgkmcnt(0)
	s_barrier
	buffer_gl0_inv
	s_mov_b32 s2, exec_lo
	v_lshl_add_u32 v1, s13, 10, v1
	s_delay_alu instid0(VALU_DEP_1)
	v_cmpx_gt_i32_e64 s9, v1
	s_cbranch_execz .LBB6_175
; %bb.19:
	s_abs_i32 s2, s11
	s_mov_b32 s24, 0
	v_cvt_f32_u32_e32 v2, s2
	s_mov_b32 s25, s24
	s_mov_b32 s26, s24
	;; [unrolled: 1-line block ×3, first 2 shown]
	s_sub_i32 s13, 0, s2
	v_rcp_iflag_f32_e32 v2, v2
	s_abs_i32 s14, s10
	s_xor_b32 s11, s10, s11
	s_delay_alu instid0(SALU_CYCLE_1) | instskip(SKIP_2) | instid1(VALU_DEP_1)
	s_ashr_i32 s11, s11, 31
	s_waitcnt_depctr 0xfff
	v_mul_f32_e32 v2, 0x4f7ffffe, v2
	v_cvt_u32_f32_e32 v2, v2
	s_delay_alu instid0(VALU_DEP_1) | instskip(NEXT) | instid1(VALU_DEP_1)
	v_readfirstlane_b32 s3, v2
	s_mul_i32 s13, s13, s3
	s_delay_alu instid0(SALU_CYCLE_1) | instskip(NEXT) | instid1(SALU_CYCLE_1)
	s_mul_hi_u32 s13, s3, s13
	s_add_i32 s3, s3, s13
	s_delay_alu instid0(SALU_CYCLE_1) | instskip(NEXT) | instid1(SALU_CYCLE_1)
	s_mul_hi_u32 s3, s14, s3
	s_mul_i32 s13, s3, s2
	s_delay_alu instid0(SALU_CYCLE_1)
	s_sub_i32 s13, s14, s13
	s_add_i32 s14, s3, 1
	s_sub_i32 s22, s13, s2
	s_cmp_ge_u32 s13, s2
	s_cselect_b32 s3, s14, s3
	s_cselect_b32 s13, s22, s13
	s_add_i32 s14, s3, 1
	s_cmp_ge_u32 s13, s2
	s_cselect_b32 s2, s14, s3
	s_delay_alu instid0(SALU_CYCLE_1) | instskip(NEXT) | instid1(SALU_CYCLE_1)
	s_xor_b32 s2, s2, s11
	s_sub_i32 s11, s2, s11
	s_delay_alu instid0(SALU_CYCLE_1) | instskip(SKIP_2) | instid1(VALU_DEP_1)
	s_abs_i32 s2, s11
	s_cmp_ge_i32 s15, s10
	v_cvt_f32_u32_e32 v2, s2
	v_rcp_iflag_f32_e32 v2, v2
	s_waitcnt_depctr 0xfff
	v_mul_f32_e32 v3, 0x4f7ffffe, v2
	v_ashrrev_i32_e32 v2, 31, v1
	s_delay_alu instid0(VALU_DEP_2) | instskip(SKIP_1) | instid1(VALU_DEP_3)
	v_cvt_u32_f32_e32 v8, v3
	v_dual_mov_b32 v3, s24 :: v_dual_mov_b32 v4, s25
	v_lshlrev_b64 v[16:17], 1, v[1:2]
	v_dual_mov_b32 v5, s26 :: v_dual_mov_b32 v6, s27
	s_delay_alu instid0(VALU_DEP_4)
	v_readfirstlane_b32 s3, v8
	s_clause 0x3
	scratch_store_b128 off, v[3:6], off
	scratch_store_b128 off, v[3:6], off offset:16
	scratch_store_b128 off, v[3:6], off offset:32
	;; [unrolled: 1-line block ×3, first 2 shown]
	s_cbranch_scc1 .LBB6_32
; %bb.20:
	s_sub_i32 s10, 0, s2
	s_abs_i32 s22, s15
	s_mul_i32 s10, s10, s3
	s_ashr_i32 s13, s15, 31
	s_mul_hi_u32 s10, s3, s10
	s_ashr_i32 s14, s11, 31
	s_add_i32 s3, s3, s10
	v_lshrrev_b32_e32 v3, 29, v2
	s_mul_hi_u32 s3, s22, s3
	s_xor_b32 s13, s13, s14
	s_mul_i32 s23, s3, s2
	s_add_i32 s10, 0, 32
	s_sub_i32 s14, s22, s23
	s_add_i32 s22, s3, 1
	s_sub_i32 s23, s14, s2
	s_cmp_ge_u32 s14, s2
	v_add_nc_u32_e32 v3, v1, v3
	s_cselect_b32 s3, s22, s3
	s_cselect_b32 s14, s23, s14
	s_add_i32 s22, s3, 1
	s_cmp_ge_u32 s14, s2
	v_ashrrev_i32_e32 v3, 3, v3
	s_cselect_b32 s2, s22, s3
	s_ashr_i32 s3, s9, 31
	s_xor_b32 s2, s2, s13
	s_lshr_b32 s14, s3, 29
	s_sub_i32 s13, s2, s13
	s_add_i32 s2, s9, s14
	v_ashrrev_i32_e32 v4, 31, v3
	s_ashr_i32 s14, s2, 3
	s_mul_i32 s24, s13, s9
	s_mul_i32 s22, s13, s14
	s_load_b64 s[0:1], s[0:1], 0x4
	s_ashr_i32 s23, s22, 31
	v_lshlrev_b64 v[3:4], 2, v[3:4]
	s_lshl_b64 s[22:23], s[22:23], 2
	v_bfe_u32 v10, v0, 10, 10
	s_add_u32 s2, s18, s22
	s_addc_u32 s22, s19, s23
	s_ashr_i32 s25, s24, 31
	v_add_co_u32 v5, vcc_lo, s2, v3
	v_add_co_ci_u32_e32 v6, vcc_lo, s22, v4, vcc_lo
	s_lshl_b64 s[22:23], s[24:25], 1
	v_bfe_u32 v11, v0, 20, 10
	s_add_u32 s2, s4, s22
	global_load_b32 v8, v[5:6], off
	s_addc_u32 s22, s5, s23
	v_add_co_u32 v5, vcc_lo, s2, v16
	v_add_co_ci_u32_e32 v6, vcc_lo, s22, v17, vcc_lo
	v_add_co_u32 v22, vcc_lo, s4, v16
	s_ashr_i32 s4, s15, 3
	global_load_b64 v[5:6], v[5:6], off
	s_mul_i32 s4, s4, s9
	s_waitcnt lgkmcnt(0)
	s_lshr_b32 s0, s0, 16
	v_add_co_ci_u32_e32 v23, vcc_lo, s5, v17, vcc_lo
	v_lshlrev_b64 v[0:1], 2, v[1:2]
	s_ashr_i32 s5, s4, 31
	v_lshlrev_b32_e32 v9, 4, v7
	v_add_co_u32 v25, vcc_lo, s18, v3
	s_mul_i32 s18, s0, s1
	v_mul_u32_u24_e32 v2, s1, v10
	s_lshl_b64 s[0:1], s[4:5], 2
	v_mul_lo_u32 v3, s18, v7
	s_add_u32 s4, s16, s0
	v_add_co_ci_u32_e32 v26, vcc_lo, s19, v4, vcc_lo
	v_add_co_u32 v18, vcc_lo, s4, v0
	s_addc_u32 s1, s17, s1
	s_lshl_b32 s0, s9, 2
	s_delay_alu instid0(VALU_DEP_3) | instskip(SKIP_3) | instid1(VALU_DEP_2)
	v_add3_u32 v2, v3, v2, v11
	v_add_co_ci_u32_e32 v19, vcc_lo, s1, v1, vcc_lo
	s_mov_b32 s2, s9
	s_add_i32 s5, s13, 1
	v_lshl_add_u32 v27, v2, 4, 0x840
	s_ashr_i32 s1, s0, 31
	s_mul_i32 s16, s5, s11
	s_lshl_b64 s[2:3], s[2:3], 2
	s_mov_b32 s17, 0xf000f
	s_lshl_b64 s[4:5], s[0:1], 2
	s_mov_b32 s18, s15
	s_waitcnt vmcnt(1)
	v_lshrrev_b32_e32 v0, v9, v8
	s_delay_alu instid0(VALU_DEP_1)
	v_bfe_u32 v3, v0, 4, 4
	v_bfe_u32 v4, v0, 8, 4
	v_bfe_u32 v0, v0, 12, 4
	s_waitcnt vmcnt(0)
	v_lshlrev_b32_e32 v28, 16, v5
	v_add_nc_u32_e32 v3, s20, v3
	v_and_b32_e32 v29, 0xffff0000, v5
	v_add_nc_u32_e32 v0, s20, v0
	v_lshlrev_b32_e32 v30, 16, v6
	v_and_b32_e32 v31, 0xffff0000, v6
	v_cvt_f32_u32_e32 v3, v3
	s_delay_alu instid0(VALU_DEP_4) | instskip(NEXT) | instid1(VALU_DEP_1)
	v_cvt_f32_u32_e32 v0, v0
	v_dual_add_f32 v3, 0x43000000, v3 :: v_dual_add_f32 v0, 0x43000000, v0
	v_and_b32_e32 v24, 16, v9
	s_delay_alu instid0(VALU_DEP_2) | instskip(NEXT) | instid1(VALU_DEP_3)
	v_mul_f32_e64 v33, v29, -v3
	v_mul_f32_e64 v35, -v0, v31
	s_delay_alu instid0(VALU_DEP_3) | instskip(NEXT) | instid1(VALU_DEP_1)
	v_bfe_u32 v1, v8, v24, 4
	v_add_nc_u32_e32 v1, s20, v1
	s_delay_alu instid0(VALU_DEP_1) | instskip(NEXT) | instid1(VALU_DEP_1)
	v_cvt_f32_u32_e32 v1, v1
	v_dual_add_f32 v1, 0x43000000, v1 :: v_dual_add_nc_u32 v4, s20, v4
	s_delay_alu instid0(VALU_DEP_1) | instskip(NEXT) | instid1(VALU_DEP_2)
	v_cvt_f32_u32_e32 v4, v4
	v_mul_f32_e64 v32, v28, -v1
	s_delay_alu instid0(VALU_DEP_2) | instskip(NEXT) | instid1(VALU_DEP_1)
	v_add_f32_e32 v4, 0x43000000, v4
	v_mul_f32_e64 v34, -v4, v30
.LBB6_21:                               ; =>This Loop Header: Depth=1
                                        ;     Child Loop BB6_24 Depth 2
                                        ;     Child Loop BB6_26 Depth 2
	;; [unrolled: 1-line block ×4, first 2 shown]
	s_cmp_lg_u32 s18, s16
	s_cbranch_scc1 .LBB6_23
; %bb.22:                               ;   in Loop: Header=BB6_21 Depth=1
	s_add_i32 s13, s13, 1
	s_add_i32 s16, s16, s11
	s_mul_i32 s0, s13, s14
	s_mul_i32 s22, s13, s9
	s_ashr_i32 s1, s0, 31
	s_ashr_i32 s23, s22, 31
	s_lshl_b64 s[0:1], s[0:1], 2
	s_delay_alu instid0(SALU_CYCLE_1) | instskip(SKIP_2) | instid1(SALU_CYCLE_1)
	v_add_co_u32 v0, vcc_lo, v25, s0
	v_add_co_ci_u32_e32 v1, vcc_lo, s1, v26, vcc_lo
	s_lshl_b64 s[0:1], s[22:23], 1
	v_add_co_u32 v2, vcc_lo, v22, s0
	v_add_co_ci_u32_e32 v3, vcc_lo, s1, v23, vcc_lo
	global_load_b32 v4, v[0:1], off
	global_load_b64 v[0:1], v[2:3], off
	s_waitcnt vmcnt(1)
	v_lshrrev_b32_e32 v2, v24, v4
	v_bfe_u32 v3, v4, v24, 4
	s_waitcnt vmcnt(0)
	v_lshlrev_b32_e32 v28, 16, v0
	v_and_b32_e32 v29, 0xffff0000, v0
	v_lshlrev_b32_e32 v30, 16, v1
	v_bfe_u32 v4, v2, 4, 4
	v_bfe_u32 v5, v2, 8, 4
	;; [unrolled: 1-line block ×3, first 2 shown]
	v_add_nc_u32_e32 v0, s20, v3
	v_and_b32_e32 v31, 0xffff0000, v1
	s_delay_alu instid0(VALU_DEP_3) | instskip(NEXT) | instid1(VALU_DEP_1)
	v_add_nc_u32_e32 v2, s20, v2
	v_cvt_f32_u32_e32 v2, v2
	v_add_nc_u32_e32 v3, s20, v4
	v_add_nc_u32_e32 v4, s20, v5
	s_delay_alu instid0(VALU_DEP_3) | instskip(NEXT) | instid1(VALU_DEP_3)
	v_add_f32_e32 v2, 0x43000000, v2
	v_cvt_f32_u32_e32 v3, v3
	s_delay_alu instid0(VALU_DEP_3) | instskip(NEXT) | instid1(VALU_DEP_3)
	v_cvt_f32_u32_e32 v4, v4
	v_mul_f32_e64 v35, -v2, v31
	s_delay_alu instid0(VALU_DEP_3) | instskip(NEXT) | instid1(VALU_DEP_3)
	v_add_f32_e32 v1, 0x43000000, v3
	v_add_f32_e32 v3, 0x43000000, v4
	v_cvt_f32_u32_e32 v0, v0
	s_delay_alu instid0(VALU_DEP_3) | instskip(NEXT) | instid1(VALU_DEP_3)
	v_mul_f32_e64 v33, v29, -v1
	v_mul_f32_e64 v34, -v3, v30
	s_delay_alu instid0(VALU_DEP_3) | instskip(NEXT) | instid1(VALU_DEP_1)
	v_add_f32_e32 v0, 0x43000000, v0
	v_mul_f32_e64 v32, v28, -v0
.LBB6_23:                               ;   in Loop: Header=BB6_21 Depth=1
	global_load_b128 v[39:42], v[18:19], off
	s_sub_i32 s0, s18, s15
	v_mov_b32_e32 v38, v27
	s_lshl_b32 s19, s0, 1
	s_mov_b32 s22, 0
	v_mov_b32_e32 v12, s19
	s_mov_b32 s23, s10
	ds_load_b128 v[0:3], v12
	ds_load_b128 v[4:7], v12 offset:528
	ds_load_b128 v[8:11], v12 offset:1056
	;; [unrolled: 1-line block ×3, first 2 shown]
	s_waitcnt lgkmcnt(3)
	v_dot2_f32_bf16 v20, v0, 0x3f803f80, 0
	s_waitcnt lgkmcnt(2)
	v_dot2_f32_bf16 v21, v4, 0x3f803f80, 0
	;; [unrolled: 2-line block ×4, first 2 shown]
	v_dot2_f32_bf16 v20, v1, 0x3f803f80, v20
	v_dot2_f32_bf16 v21, v5, 0x3f803f80, v21
	;; [unrolled: 1-line block ×3, first 2 shown]
	s_delay_alu instid0(VALU_DEP_4) | instskip(NEXT) | instid1(VALU_DEP_4)
	v_dot2_f32_bf16 v37, v13, 0x3f803f80, v37
	v_dot2_f32_bf16 v20, v2, 0x3f803f80, v20
	s_delay_alu instid0(VALU_DEP_4) | instskip(NEXT) | instid1(VALU_DEP_4)
	v_dot2_f32_bf16 v21, v6, 0x3f803f80, v21
	v_dot2_f32_bf16 v36, v10, 0x3f803f80, v36
	;; [unrolled: 3-line block ×4, first 2 shown]
	s_delay_alu instid0(VALU_DEP_4)
	v_dot2_f32_bf16 v37, v15, 0x3f803f80, v37
	s_waitcnt vmcnt(0)
	ds_store_b128 v27, v[39:42]
.LBB6_24:                               ;   Parent Loop BB6_21 Depth=1
                                        ; =>  This Inner Loop Header: Depth=2
	s_clause 0x2
	scratch_load_b32 v39, off, s23 offset:-32
	scratch_load_b32 v40, off, s23 offset:-16
	scratch_load_b32 v41, off, s23
	s_cmp_eq_u32 s22, 1
	ds_load_b32 v44, v38
	s_cselect_b32 vcc_lo, -1, 0
	s_cmp_eq_u32 s22, 2
	v_dual_cndmask_b32 v45, v32, v33 :: v_dual_add_nc_u32 v38, 4, v38
	s_cselect_b32 s0, -1, 0
	s_cmp_eq_u32 s22, 3
	s_cselect_b32 s1, -1, 0
	s_add_i32 s24, s23, 16
	v_cndmask_b32_e64 v45, v45, v34, s0
	scratch_load_b32 v43, off, s24
	s_add_i32 s22, s22, 1
	v_cndmask_b32_e64 v45, v45, v35, s1
	v_cndmask_b32_e32 v42, v28, v29, vcc_lo
	s_waitcnt lgkmcnt(0)
	v_lshrrev_b32_e32 v46, 4, v44
	v_and_or_b32 v48, v44, s17, 0x43004300
	v_lshrrev_b32_e32 v47, 8, v44
	v_lshrrev_b32_e32 v44, 12, v44
	s_delay_alu instid0(VALU_DEP_4) | instskip(NEXT) | instid1(VALU_DEP_4)
	v_and_or_b32 v46, v46, s17, 0x43004300
	v_dot2_f32_bf16 v49, v0, v48, 0
	v_dot2_f32_bf16 v50, v4, v48, 0
	;; [unrolled: 1-line block ×3, first 2 shown]
	v_and_or_b32 v47, v47, s17, 0x43004300
	v_dot2_f32_bf16 v48, v12, v48, 0
	v_dot2_f32_bf16 v49, v1, v46, v49
	;; [unrolled: 1-line block ×4, first 2 shown]
	v_and_or_b32 v44, v44, s17, 0x43004300
	v_dot2_f32_bf16 v46, v13, v46, v48
	v_dot2_f32_bf16 v48, v2, v47, v49
	;; [unrolled: 1-line block ×4, first 2 shown]
	s_delay_alu instid0(VALU_DEP_4) | instskip(NEXT) | instid1(VALU_DEP_4)
	v_dot2_f32_bf16 v46, v14, v47, v46
	v_dot2_f32_bf16 v47, v3, v44, v48
	s_delay_alu instid0(VALU_DEP_4) | instskip(NEXT) | instid1(VALU_DEP_4)
	v_dot2_f32_bf16 v48, v7, v44, v49
	v_dot2_f32_bf16 v49, v11, v44, v50
	s_delay_alu instid0(VALU_DEP_4)
	v_dot2_f32_bf16 v44, v15, v44, v46
	s_waitcnt vmcnt(3)
	v_fmac_f32_e32 v39, v45, v20
	s_waitcnt vmcnt(1)
	v_fmac_f32_e32 v41, v45, v36
	v_cndmask_b32_e64 v42, v42, v30, s0
	s_delay_alu instid0(VALU_DEP_1) | instskip(NEXT) | instid1(VALU_DEP_1)
	v_cndmask_b32_e64 v42, v42, v31, s1
	v_dual_fmac_f32 v40, v45, v21 :: v_dual_fmac_f32 v39, v42, v47
	s_waitcnt vmcnt(0)
	s_delay_alu instid0(VALU_DEP_1)
	v_dual_fmac_f32 v40, v42, v48 :: v_dual_fmac_f32 v43, v45, v37
	v_fmac_f32_e32 v41, v42, v49
	s_clause 0x1
	scratch_store_b32 off, v40, s23 offset:-16
	scratch_store_b32 off, v41, s23
	v_fmac_f32_e32 v43, v42, v44
	scratch_store_b32 off, v39, s23 offset:-32
	s_add_i32 s23, s23, 4
	s_cmp_eq_u32 s22, 4
	scratch_store_b32 off, v43, s24
	s_cbranch_scc0 .LBB6_24
; %bb.25:                               ;   in Loop: Header=BB6_21 Depth=1
	v_add_co_u32 v20, vcc_lo, v18, s2
	v_add_co_ci_u32_e32 v21, vcc_lo, s3, v19, vcc_lo
	v_mov_b32_e32 v12, s19
	v_mov_b32_e32 v40, v27
	s_mov_b32 s22, 0
	global_load_b128 v[41:44], v[20:21], off
	ds_load_b128 v[0:3], v12 offset:16
	ds_load_b128 v[4:7], v12 offset:544
	;; [unrolled: 1-line block ×4, first 2 shown]
	s_mov_b32 s23, s10
	s_waitcnt lgkmcnt(3)
	v_dot2_f32_bf16 v36, v0, 0x3f803f80, 0
	s_waitcnt lgkmcnt(2)
	v_dot2_f32_bf16 v37, v4, 0x3f803f80, 0
	;; [unrolled: 2-line block ×4, first 2 shown]
	v_dot2_f32_bf16 v36, v1, 0x3f803f80, v36
	v_dot2_f32_bf16 v37, v5, 0x3f803f80, v37
	;; [unrolled: 1-line block ×3, first 2 shown]
	s_delay_alu instid0(VALU_DEP_4) | instskip(NEXT) | instid1(VALU_DEP_4)
	v_dot2_f32_bf16 v39, v13, 0x3f803f80, v39
	v_dot2_f32_bf16 v36, v2, 0x3f803f80, v36
	s_delay_alu instid0(VALU_DEP_4) | instskip(NEXT) | instid1(VALU_DEP_4)
	v_dot2_f32_bf16 v37, v6, 0x3f803f80, v37
	v_dot2_f32_bf16 v38, v10, 0x3f803f80, v38
	;; [unrolled: 3-line block ×4, first 2 shown]
	s_delay_alu instid0(VALU_DEP_4)
	v_dot2_f32_bf16 v39, v15, 0x3f803f80, v39
	s_waitcnt vmcnt(0)
	ds_store_b128 v27, v[41:44]
.LBB6_26:                               ;   Parent Loop BB6_21 Depth=1
                                        ; =>  This Inner Loop Header: Depth=2
	s_clause 0x2
	scratch_load_b32 v41, off, s23 offset:-32
	scratch_load_b32 v42, off, s23 offset:-16
	scratch_load_b32 v43, off, s23
	s_cmp_eq_u32 s22, 1
	ds_load_b32 v46, v40
	s_cselect_b32 vcc_lo, -1, 0
	s_cmp_eq_u32 s22, 2
	v_dual_cndmask_b32 v47, v32, v33 :: v_dual_add_nc_u32 v40, 4, v40
	s_cselect_b32 s0, -1, 0
	s_cmp_eq_u32 s22, 3
	s_cselect_b32 s1, -1, 0
	s_add_i32 s24, s23, 16
	v_cndmask_b32_e64 v47, v47, v34, s0
	scratch_load_b32 v45, off, s24
	s_add_i32 s22, s22, 1
	v_cndmask_b32_e64 v47, v47, v35, s1
	v_cndmask_b32_e32 v44, v28, v29, vcc_lo
	s_waitcnt lgkmcnt(0)
	v_lshrrev_b32_e32 v48, 4, v46
	v_and_or_b32 v50, v46, s17, 0x43004300
	v_lshrrev_b32_e32 v49, 8, v46
	v_lshrrev_b32_e32 v46, 12, v46
	s_delay_alu instid0(VALU_DEP_4) | instskip(NEXT) | instid1(VALU_DEP_4)
	v_and_or_b32 v48, v48, s17, 0x43004300
	v_dot2_f32_bf16 v51, v0, v50, 0
	v_dot2_f32_bf16 v52, v4, v50, 0
	;; [unrolled: 1-line block ×3, first 2 shown]
	v_and_or_b32 v49, v49, s17, 0x43004300
	v_dot2_f32_bf16 v50, v12, v50, 0
	v_dot2_f32_bf16 v51, v1, v48, v51
	;; [unrolled: 1-line block ×4, first 2 shown]
	v_and_or_b32 v46, v46, s17, 0x43004300
	v_dot2_f32_bf16 v48, v13, v48, v50
	v_dot2_f32_bf16 v50, v2, v49, v51
	;; [unrolled: 1-line block ×4, first 2 shown]
	s_delay_alu instid0(VALU_DEP_4) | instskip(NEXT) | instid1(VALU_DEP_4)
	v_dot2_f32_bf16 v48, v14, v49, v48
	v_dot2_f32_bf16 v49, v3, v46, v50
	s_delay_alu instid0(VALU_DEP_4) | instskip(NEXT) | instid1(VALU_DEP_4)
	v_dot2_f32_bf16 v50, v7, v46, v51
	v_dot2_f32_bf16 v51, v11, v46, v52
	s_delay_alu instid0(VALU_DEP_4) | instskip(SKIP_3) | instid1(VALU_DEP_1)
	v_dot2_f32_bf16 v46, v15, v46, v48
	s_waitcnt vmcnt(1)
	v_fmac_f32_e32 v43, v47, v38
	v_cndmask_b32_e64 v44, v44, v30, s0
	v_cndmask_b32_e64 v44, v44, v31, s1
	s_delay_alu instid0(VALU_DEP_1) | instskip(NEXT) | instid1(VALU_DEP_1)
	v_dual_fmac_f32 v42, v47, v37 :: v_dual_fmac_f32 v43, v44, v51
	v_dual_fmac_f32 v41, v47, v36 :: v_dual_fmac_f32 v42, v44, v50
	s_waitcnt vmcnt(0)
	v_fmac_f32_e32 v45, v47, v39
	s_clause 0x1
	scratch_store_b32 off, v42, s23 offset:-16
	scratch_store_b32 off, v43, s23
	v_fmac_f32_e32 v41, v44, v49
	v_fmac_f32_e32 v45, v44, v46
	s_clause 0x1
	scratch_store_b32 off, v41, s23 offset:-32
	scratch_store_b32 off, v45, s24
	s_add_i32 s23, s23, 4
	s_cmp_lg_u32 s22, 4
	s_cbranch_scc1 .LBB6_26
; %bb.27:                               ;   in Loop: Header=BB6_21 Depth=1
	v_add_co_u32 v20, vcc_lo, v20, s2
	v_add_co_ci_u32_e32 v21, vcc_lo, s3, v21, vcc_lo
	v_mov_b32_e32 v12, s19
	v_mov_b32_e32 v40, v27
	s_mov_b32 s22, 0
	global_load_b128 v[41:44], v[20:21], off
	ds_load_b128 v[0:3], v12 offset:32
	ds_load_b128 v[4:7], v12 offset:560
	;; [unrolled: 1-line block ×4, first 2 shown]
	s_mov_b32 s23, s10
	s_waitcnt lgkmcnt(3)
	v_dot2_f32_bf16 v36, v0, 0x3f803f80, 0
	s_waitcnt lgkmcnt(2)
	v_dot2_f32_bf16 v37, v4, 0x3f803f80, 0
	;; [unrolled: 2-line block ×4, first 2 shown]
	v_dot2_f32_bf16 v36, v1, 0x3f803f80, v36
	v_dot2_f32_bf16 v37, v5, 0x3f803f80, v37
	;; [unrolled: 1-line block ×3, first 2 shown]
	s_delay_alu instid0(VALU_DEP_4) | instskip(NEXT) | instid1(VALU_DEP_4)
	v_dot2_f32_bf16 v39, v13, 0x3f803f80, v39
	v_dot2_f32_bf16 v36, v2, 0x3f803f80, v36
	s_delay_alu instid0(VALU_DEP_4) | instskip(NEXT) | instid1(VALU_DEP_4)
	v_dot2_f32_bf16 v37, v6, 0x3f803f80, v37
	v_dot2_f32_bf16 v38, v10, 0x3f803f80, v38
	;; [unrolled: 3-line block ×4, first 2 shown]
	s_delay_alu instid0(VALU_DEP_4)
	v_dot2_f32_bf16 v39, v15, 0x3f803f80, v39
	s_waitcnt vmcnt(0)
	ds_store_b128 v27, v[41:44]
.LBB6_28:                               ;   Parent Loop BB6_21 Depth=1
                                        ; =>  This Inner Loop Header: Depth=2
	s_clause 0x2
	scratch_load_b32 v41, off, s23 offset:-32
	scratch_load_b32 v42, off, s23 offset:-16
	scratch_load_b32 v43, off, s23
	s_cmp_eq_u32 s22, 1
	ds_load_b32 v46, v40
	s_cselect_b32 vcc_lo, -1, 0
	s_cmp_eq_u32 s22, 2
	v_dual_cndmask_b32 v47, v32, v33 :: v_dual_add_nc_u32 v40, 4, v40
	s_cselect_b32 s0, -1, 0
	s_cmp_eq_u32 s22, 3
	s_cselect_b32 s1, -1, 0
	s_add_i32 s24, s23, 16
	v_cndmask_b32_e64 v47, v47, v34, s0
	scratch_load_b32 v45, off, s24
	s_add_i32 s22, s22, 1
	v_cndmask_b32_e64 v47, v47, v35, s1
	v_cndmask_b32_e32 v44, v28, v29, vcc_lo
	s_waitcnt lgkmcnt(0)
	v_lshrrev_b32_e32 v48, 4, v46
	v_and_or_b32 v50, v46, s17, 0x43004300
	v_lshrrev_b32_e32 v49, 8, v46
	v_lshrrev_b32_e32 v46, 12, v46
	s_delay_alu instid0(VALU_DEP_4) | instskip(NEXT) | instid1(VALU_DEP_4)
	v_and_or_b32 v48, v48, s17, 0x43004300
	v_dot2_f32_bf16 v51, v0, v50, 0
	v_dot2_f32_bf16 v52, v4, v50, 0
	;; [unrolled: 1-line block ×3, first 2 shown]
	v_and_or_b32 v49, v49, s17, 0x43004300
	v_dot2_f32_bf16 v50, v12, v50, 0
	v_dot2_f32_bf16 v51, v1, v48, v51
	;; [unrolled: 1-line block ×4, first 2 shown]
	v_and_or_b32 v46, v46, s17, 0x43004300
	v_dot2_f32_bf16 v48, v13, v48, v50
	v_dot2_f32_bf16 v50, v2, v49, v51
	;; [unrolled: 1-line block ×4, first 2 shown]
	s_delay_alu instid0(VALU_DEP_4) | instskip(NEXT) | instid1(VALU_DEP_4)
	v_dot2_f32_bf16 v48, v14, v49, v48
	v_dot2_f32_bf16 v49, v3, v46, v50
	s_delay_alu instid0(VALU_DEP_4) | instskip(NEXT) | instid1(VALU_DEP_4)
	v_dot2_f32_bf16 v50, v7, v46, v51
	v_dot2_f32_bf16 v51, v11, v46, v52
	s_delay_alu instid0(VALU_DEP_4) | instskip(SKIP_3) | instid1(VALU_DEP_1)
	v_dot2_f32_bf16 v46, v15, v46, v48
	s_waitcnt vmcnt(1)
	v_fmac_f32_e32 v43, v47, v38
	v_cndmask_b32_e64 v44, v44, v30, s0
	v_cndmask_b32_e64 v44, v44, v31, s1
	s_delay_alu instid0(VALU_DEP_1) | instskip(NEXT) | instid1(VALU_DEP_1)
	v_dual_fmac_f32 v42, v47, v37 :: v_dual_fmac_f32 v43, v44, v51
	v_dual_fmac_f32 v41, v47, v36 :: v_dual_fmac_f32 v42, v44, v50
	s_waitcnt vmcnt(0)
	v_fmac_f32_e32 v45, v47, v39
	s_clause 0x1
	scratch_store_b32 off, v42, s23 offset:-16
	scratch_store_b32 off, v43, s23
	v_fmac_f32_e32 v41, v44, v49
	v_fmac_f32_e32 v45, v44, v46
	s_clause 0x1
	scratch_store_b32 off, v41, s23 offset:-32
	scratch_store_b32 off, v45, s24
	s_add_i32 s23, s23, 4
	s_cmp_lg_u32 s22, 4
	s_cbranch_scc1 .LBB6_28
; %bb.29:                               ;   in Loop: Header=BB6_21 Depth=1
	v_add_co_u32 v0, vcc_lo, v20, s2
	v_add_co_ci_u32_e32 v1, vcc_lo, s3, v21, vcc_lo
	v_mov_b32_e32 v12, s19
	v_mov_b32_e32 v38, v27
	s_mov_b32 s19, 0
	global_load_b128 v[39:42], v[0:1], off
	ds_load_b128 v[0:3], v12 offset:48
	ds_load_b128 v[4:7], v12 offset:576
	;; [unrolled: 1-line block ×4, first 2 shown]
	s_mov_b32 s22, s10
	s_waitcnt lgkmcnt(3)
	v_dot2_f32_bf16 v20, v0, 0x3f803f80, 0
	s_waitcnt lgkmcnt(2)
	v_dot2_f32_bf16 v21, v4, 0x3f803f80, 0
	;; [unrolled: 2-line block ×4, first 2 shown]
	v_dot2_f32_bf16 v20, v1, 0x3f803f80, v20
	v_dot2_f32_bf16 v21, v5, 0x3f803f80, v21
	v_dot2_f32_bf16 v36, v9, 0x3f803f80, v36
	s_delay_alu instid0(VALU_DEP_4) | instskip(NEXT) | instid1(VALU_DEP_4)
	v_dot2_f32_bf16 v37, v13, 0x3f803f80, v37
	v_dot2_f32_bf16 v20, v2, 0x3f803f80, v20
	s_delay_alu instid0(VALU_DEP_4) | instskip(NEXT) | instid1(VALU_DEP_4)
	v_dot2_f32_bf16 v21, v6, 0x3f803f80, v21
	v_dot2_f32_bf16 v36, v10, 0x3f803f80, v36
	;; [unrolled: 3-line block ×4, first 2 shown]
	s_delay_alu instid0(VALU_DEP_4)
	v_dot2_f32_bf16 v37, v15, 0x3f803f80, v37
	s_waitcnt vmcnt(0)
	ds_store_b128 v27, v[39:42]
.LBB6_30:                               ;   Parent Loop BB6_21 Depth=1
                                        ; =>  This Inner Loop Header: Depth=2
	s_clause 0x2
	scratch_load_b32 v39, off, s22 offset:-32
	scratch_load_b32 v40, off, s22 offset:-16
	scratch_load_b32 v41, off, s22
	s_cmp_eq_u32 s19, 1
	ds_load_b32 v44, v38
	s_cselect_b32 vcc_lo, -1, 0
	s_cmp_eq_u32 s19, 2
	v_dual_cndmask_b32 v45, v32, v33 :: v_dual_add_nc_u32 v38, 4, v38
	s_cselect_b32 s0, -1, 0
	s_cmp_eq_u32 s19, 3
	s_cselect_b32 s1, -1, 0
	s_add_i32 s23, s22, 16
	v_cndmask_b32_e64 v45, v45, v34, s0
	scratch_load_b32 v43, off, s23
	s_add_i32 s19, s19, 1
	v_cndmask_b32_e64 v45, v45, v35, s1
	v_cndmask_b32_e32 v42, v28, v29, vcc_lo
	s_waitcnt lgkmcnt(0)
	v_lshrrev_b32_e32 v46, 4, v44
	v_and_or_b32 v48, v44, s17, 0x43004300
	v_lshrrev_b32_e32 v47, 8, v44
	v_lshrrev_b32_e32 v44, 12, v44
	s_delay_alu instid0(VALU_DEP_4) | instskip(NEXT) | instid1(VALU_DEP_4)
	v_and_or_b32 v46, v46, s17, 0x43004300
	v_dot2_f32_bf16 v49, v0, v48, 0
	v_dot2_f32_bf16 v50, v4, v48, 0
	;; [unrolled: 1-line block ×3, first 2 shown]
	v_and_or_b32 v47, v47, s17, 0x43004300
	v_dot2_f32_bf16 v48, v12, v48, 0
	v_dot2_f32_bf16 v49, v1, v46, v49
	v_dot2_f32_bf16 v50, v5, v46, v50
	v_dot2_f32_bf16 v51, v9, v46, v51
	v_and_or_b32 v44, v44, s17, 0x43004300
	v_dot2_f32_bf16 v46, v13, v46, v48
	v_dot2_f32_bf16 v48, v2, v47, v49
	;; [unrolled: 1-line block ×4, first 2 shown]
	s_delay_alu instid0(VALU_DEP_4) | instskip(NEXT) | instid1(VALU_DEP_4)
	v_dot2_f32_bf16 v46, v14, v47, v46
	v_dot2_f32_bf16 v47, v3, v44, v48
	s_delay_alu instid0(VALU_DEP_4) | instskip(NEXT) | instid1(VALU_DEP_4)
	v_dot2_f32_bf16 v48, v7, v44, v49
	v_dot2_f32_bf16 v49, v11, v44, v50
	s_delay_alu instid0(VALU_DEP_4)
	v_dot2_f32_bf16 v44, v15, v44, v46
	s_waitcnt vmcnt(3)
	v_fmac_f32_e32 v39, v45, v20
	s_waitcnt vmcnt(1)
	v_fmac_f32_e32 v41, v45, v36
	v_cndmask_b32_e64 v42, v42, v30, s0
	s_delay_alu instid0(VALU_DEP_1) | instskip(NEXT) | instid1(VALU_DEP_1)
	v_cndmask_b32_e64 v42, v42, v31, s1
	v_dual_fmac_f32 v40, v45, v21 :: v_dual_fmac_f32 v39, v42, v47
	s_waitcnt vmcnt(0)
	s_delay_alu instid0(VALU_DEP_1)
	v_dual_fmac_f32 v40, v42, v48 :: v_dual_fmac_f32 v43, v45, v37
	v_fmac_f32_e32 v41, v42, v49
	s_clause 0x1
	scratch_store_b32 off, v40, s22 offset:-16
	scratch_store_b32 off, v41, s22
	v_fmac_f32_e32 v43, v42, v44
	scratch_store_b32 off, v39, s22 offset:-32
	s_add_i32 s22, s22, 4
	s_cmp_lg_u32 s19, 4
	scratch_store_b32 off, v43, s23
	s_cbranch_scc1 .LBB6_30
; %bb.31:                               ;   in Loop: Header=BB6_21 Depth=1
	v_add_co_u32 v18, vcc_lo, v18, s4
	v_add_co_ci_u32_e32 v19, vcc_lo, s5, v19, vcc_lo
	s_add_i32 s18, s18, 32
	s_delay_alu instid0(SALU_CYCLE_1)
	s_cmp_ge_i32 s18, s21
	s_cbranch_scc0 .LBB6_21
.LBB6_32:
	v_add_co_u32 v6, vcc_lo, s6, v16
	v_add_co_ci_u32_e32 v7, vcc_lo, s7, v17, vcc_lo
	s_cmp_lt_i32 s12, s8
	s_cbranch_scc1 .LBB6_36
; %bb.33:
	s_or_b32 s0, s12, 1
	s_delay_alu instid0(SALU_CYCLE_1)
	s_cmp_ge_i32 s0, s8
	s_cbranch_scc0 .LBB6_71
.LBB6_34:
	s_or_b32 s0, s12, 2
	s_delay_alu instid0(SALU_CYCLE_1)
	s_cmp_ge_i32 s0, s8
	s_cbranch_scc0 .LBB6_106
.LBB6_35:
	s_or_b32 s0, s12, 3
	s_delay_alu instid0(SALU_CYCLE_1)
	s_cmp_ge_i32 s0, s8
	s_cbranch_scc0 .LBB6_141
	s_branch .LBB6_175
.LBB6_36:
	scratch_load_b32 v1, off, off
	s_waitcnt vmcnt(0)
	v_and_b32_e32 v0, 0x7f800000, v1
	s_delay_alu instid0(VALU_DEP_1) | instskip(SKIP_1) | instid1(SALU_CYCLE_1)
	v_cmp_ne_u32_e32 vcc_lo, 0x7f800000, v0
                                        ; implicit-def: $vgpr0
	s_and_saveexec_b32 s0, vcc_lo
	s_xor_b32 s0, exec_lo, s0
; %bb.37:
	v_bfe_u32 v0, v1, 16, 1
	s_delay_alu instid0(VALU_DEP_1)
	v_add3_u32 v0, v1, v0, 0x7fff
                                        ; implicit-def: $vgpr1
; %bb.38:
	s_and_not1_saveexec_b32 s0, s0
; %bb.39:
	v_and_b32_e32 v0, 0xffff, v1
	v_or_b32_e32 v2, 0x10000, v1
	s_delay_alu instid0(VALU_DEP_2) | instskip(NEXT) | instid1(VALU_DEP_2)
	v_cmp_eq_u32_e32 vcc_lo, 0, v0
	v_cndmask_b32_e32 v0, v2, v1, vcc_lo
; %bb.40:
	s_or_b32 exec_lo, exec_lo, s0
	scratch_load_b32 v2, off, off offset:4
	s_waitcnt vmcnt(0)
	v_and_b32_e32 v1, 0x7f800000, v2
	s_delay_alu instid0(VALU_DEP_1) | instskip(SKIP_1) | instid1(SALU_CYCLE_1)
	v_cmp_ne_u32_e32 vcc_lo, 0x7f800000, v1
                                        ; implicit-def: $vgpr1
	s_and_saveexec_b32 s0, vcc_lo
	s_xor_b32 s0, exec_lo, s0
; %bb.41:
	v_bfe_u32 v1, v2, 16, 1
	s_delay_alu instid0(VALU_DEP_1)
	v_add3_u32 v1, v2, v1, 0x7fff
                                        ; implicit-def: $vgpr2
; %bb.42:
	s_and_not1_saveexec_b32 s0, s0
; %bb.43:
	v_and_b32_e32 v1, 0xffff, v2
	v_or_b32_e32 v3, 0x10000, v2
	s_delay_alu instid0(VALU_DEP_2) | instskip(NEXT) | instid1(VALU_DEP_2)
	v_cmp_eq_u32_e32 vcc_lo, 0, v1
	v_cndmask_b32_e32 v1, v3, v2, vcc_lo
; %bb.44:
	s_or_b32 exec_lo, exec_lo, s0
	scratch_load_b32 v2, off, off offset:8
	s_mov_b32 s0, exec_lo
                                        ; implicit-def: $vgpr8
	s_waitcnt vmcnt(0)
	v_and_b32_e32 v3, 0x7f800000, v2
	s_delay_alu instid0(VALU_DEP_1)
	v_cmpx_ne_u32_e32 0x7f800000, v3
	s_xor_b32 s0, exec_lo, s0
; %bb.45:
	v_bfe_u32 v3, v2, 16, 1
	s_delay_alu instid0(VALU_DEP_1)
	v_add3_u32 v8, v2, v3, 0x7fff
                                        ; implicit-def: $vgpr2
; %bb.46:
	s_and_not1_saveexec_b32 s0, s0
; %bb.47:
	v_and_b32_e32 v3, 0xffff, v2
	v_or_b32_e32 v4, 0x10000, v2
	s_delay_alu instid0(VALU_DEP_2) | instskip(NEXT) | instid1(VALU_DEP_2)
	v_cmp_eq_u32_e32 vcc_lo, 0, v3
	v_cndmask_b32_e32 v8, v4, v2, vcc_lo
; %bb.48:
	s_or_b32 exec_lo, exec_lo, s0
	scratch_load_b32 v2, off, off offset:12
	s_mov_b32 s0, exec_lo
                                        ; implicit-def: $vgpr11
	s_waitcnt vmcnt(0)
	v_and_b32_e32 v3, 0x7f800000, v2
	s_delay_alu instid0(VALU_DEP_1)
	v_cmpx_ne_u32_e32 0x7f800000, v3
	s_xor_b32 s0, exec_lo, s0
; %bb.49:
	v_bfe_u32 v3, v2, 16, 1
	s_delay_alu instid0(VALU_DEP_1)
	v_add3_u32 v11, v2, v3, 0x7fff
                                        ; implicit-def: $vgpr2
; %bb.50:
	s_and_not1_saveexec_b32 s0, s0
; %bb.51:
	v_and_b32_e32 v3, 0xffff, v2
	v_or_b32_e32 v4, 0x10000, v2
	s_delay_alu instid0(VALU_DEP_2) | instskip(NEXT) | instid1(VALU_DEP_2)
	v_cmp_eq_u32_e32 vcc_lo, 0, v3
	v_cndmask_b32_e32 v11, v4, v2, vcc_lo
; %bb.52:
	s_or_b32 exec_lo, exec_lo, s0
	s_mul_i32 s0, s12, s9
	v_and_b32_e32 v8, 0xffff0000, v8
	s_ashr_i32 s1, s0, 31
	v_and_b32_e32 v9, 0xffff0000, v1
	s_lshl_b64 s[0:1], s[0:1], 1
	v_and_b32_e32 v10, 0xffff0000, v0
	v_add_co_u32 v4, vcc_lo, v6, s0
	v_add_co_ci_u32_e32 v5, vcc_lo, s1, v7, vcc_lo
	v_and_b32_e32 v11, 0xffff0000, v11
	s_mov_b32 s0, 0
	global_load_b64 v[2:3], v[4:5], off
	s_branch .LBB6_54
.LBB6_53:                               ;   in Loop: Header=BB6_54 Depth=1
	s_or_b32 exec_lo, exec_lo, s1
	v_lshrrev_b32_e32 v1, 16, v1
	s_delay_alu instid0(VALU_DEP_2) | instskip(SKIP_1) | instid1(VALU_DEP_2)
	v_and_b32_e32 v13, 0xffff0000, v14
	v_lshrrev_b32_e32 v0, 16, v0
	v_or_b32_e32 v1, v13, v1
	s_delay_alu instid0(VALU_DEP_2)
	v_and_or_b32 v0, 0xffff0000, v12, v0
	global_atomic_cmpswap_b64 v[0:1], v[4:5], v[0:3], off glc
	s_waitcnt vmcnt(0)
	v_cmp_eq_u64_e32 vcc_lo, v[0:1], v[2:3]
	v_dual_mov_b32 v3, v1 :: v_dual_mov_b32 v2, v0
	s_or_b32 s0, vcc_lo, s0
	s_delay_alu instid0(SALU_CYCLE_1)
	s_and_not1_b32 exec_lo, exec_lo, s0
	s_cbranch_execz .LBB6_70
.LBB6_54:                               ; =>This Inner Loop Header: Depth=1
	s_waitcnt vmcnt(0)
	v_lshlrev_b32_e32 v0, 16, v2
	s_delay_alu instid0(VALU_DEP_1) | instskip(NEXT) | instid1(VALU_DEP_1)
	v_add_f32_e32 v1, v10, v0
	v_and_b32_e32 v0, 0x7f800000, v1
	s_delay_alu instid0(VALU_DEP_1) | instskip(SKIP_1) | instid1(SALU_CYCLE_1)
	v_cmp_ne_u32_e32 vcc_lo, 0x7f800000, v0
                                        ; implicit-def: $vgpr0
	s_and_saveexec_b32 s1, vcc_lo
	s_xor_b32 s1, exec_lo, s1
; %bb.55:                               ;   in Loop: Header=BB6_54 Depth=1
	v_bfe_u32 v0, v1, 16, 1
	s_delay_alu instid0(VALU_DEP_1)
	v_add3_u32 v0, v1, v0, 0x7fff
                                        ; implicit-def: $vgpr1
; %bb.56:                               ;   in Loop: Header=BB6_54 Depth=1
	s_and_not1_saveexec_b32 s1, s1
; %bb.57:                               ;   in Loop: Header=BB6_54 Depth=1
	v_and_b32_e32 v0, 0xffff, v1
	v_or_b32_e32 v12, 0x10000, v1
	s_delay_alu instid0(VALU_DEP_2) | instskip(NEXT) | instid1(VALU_DEP_2)
	v_cmp_eq_u32_e32 vcc_lo, 0, v0
	v_cndmask_b32_e32 v0, v12, v1, vcc_lo
; %bb.58:                               ;   in Loop: Header=BB6_54 Depth=1
	s_or_b32 exec_lo, exec_lo, s1
	v_and_b32_e32 v1, 0xffff0000, v2
	s_delay_alu instid0(VALU_DEP_1) | instskip(NEXT) | instid1(VALU_DEP_1)
	v_add_f32_e32 v1, v9, v1
	v_and_b32_e32 v12, 0x7f800000, v1
	s_delay_alu instid0(VALU_DEP_1) | instskip(SKIP_1) | instid1(SALU_CYCLE_1)
	v_cmp_ne_u32_e32 vcc_lo, 0x7f800000, v12
                                        ; implicit-def: $vgpr12
	s_and_saveexec_b32 s1, vcc_lo
	s_xor_b32 s1, exec_lo, s1
; %bb.59:                               ;   in Loop: Header=BB6_54 Depth=1
	v_bfe_u32 v12, v1, 16, 1
	s_delay_alu instid0(VALU_DEP_1)
	v_add3_u32 v12, v1, v12, 0x7fff
                                        ; implicit-def: $vgpr1
; %bb.60:                               ;   in Loop: Header=BB6_54 Depth=1
	s_and_not1_saveexec_b32 s1, s1
; %bb.61:                               ;   in Loop: Header=BB6_54 Depth=1
	v_and_b32_e32 v12, 0xffff, v1
	v_or_b32_e32 v13, 0x10000, v1
	s_delay_alu instid0(VALU_DEP_2) | instskip(NEXT) | instid1(VALU_DEP_2)
	v_cmp_eq_u32_e32 vcc_lo, 0, v12
	v_cndmask_b32_e32 v12, v13, v1, vcc_lo
; %bb.62:                               ;   in Loop: Header=BB6_54 Depth=1
	s_or_b32 exec_lo, exec_lo, s1
	v_alignbit_b32 v1, v3, v2, 16
	s_delay_alu instid0(VALU_DEP_1) | instskip(NEXT) | instid1(VALU_DEP_1)
	v_and_b32_e32 v1, 0xffff0000, v1
	v_add_f32_e32 v13, v8, v1
	s_delay_alu instid0(VALU_DEP_1) | instskip(NEXT) | instid1(VALU_DEP_1)
	v_and_b32_e32 v1, 0x7f800000, v13
	v_cmp_ne_u32_e32 vcc_lo, 0x7f800000, v1
                                        ; implicit-def: $vgpr1
	s_and_saveexec_b32 s1, vcc_lo
	s_delay_alu instid0(SALU_CYCLE_1)
	s_xor_b32 s1, exec_lo, s1
; %bb.63:                               ;   in Loop: Header=BB6_54 Depth=1
	v_bfe_u32 v1, v13, 16, 1
	s_delay_alu instid0(VALU_DEP_1)
	v_add3_u32 v1, v13, v1, 0x7fff
                                        ; implicit-def: $vgpr13
; %bb.64:                               ;   in Loop: Header=BB6_54 Depth=1
	s_and_not1_saveexec_b32 s1, s1
; %bb.65:                               ;   in Loop: Header=BB6_54 Depth=1
	v_and_b32_e32 v1, 0xffff, v13
	v_or_b32_e32 v14, 0x10000, v13
	s_delay_alu instid0(VALU_DEP_2) | instskip(NEXT) | instid1(VALU_DEP_2)
	v_cmp_eq_u32_e32 vcc_lo, 0, v1
	v_cndmask_b32_e32 v1, v14, v13, vcc_lo
; %bb.66:                               ;   in Loop: Header=BB6_54 Depth=1
	s_or_b32 exec_lo, exec_lo, s1
	v_and_b32_e32 v13, 0xffff0000, v3
	s_delay_alu instid0(VALU_DEP_1) | instskip(NEXT) | instid1(VALU_DEP_1)
	v_add_f32_e32 v13, v11, v13
	v_and_b32_e32 v14, 0x7f800000, v13
	s_delay_alu instid0(VALU_DEP_1) | instskip(SKIP_1) | instid1(SALU_CYCLE_1)
	v_cmp_ne_u32_e32 vcc_lo, 0x7f800000, v14
                                        ; implicit-def: $vgpr14
	s_and_saveexec_b32 s1, vcc_lo
	s_xor_b32 s1, exec_lo, s1
; %bb.67:                               ;   in Loop: Header=BB6_54 Depth=1
	v_bfe_u32 v14, v13, 16, 1
	s_delay_alu instid0(VALU_DEP_1)
	v_add3_u32 v14, v13, v14, 0x7fff
                                        ; implicit-def: $vgpr13
; %bb.68:                               ;   in Loop: Header=BB6_54 Depth=1
	s_and_not1_saveexec_b32 s1, s1
	s_cbranch_execz .LBB6_53
; %bb.69:                               ;   in Loop: Header=BB6_54 Depth=1
	v_and_b32_e32 v14, 0xffff, v13
	v_or_b32_e32 v15, 0x10000, v13
	s_delay_alu instid0(VALU_DEP_2) | instskip(NEXT) | instid1(VALU_DEP_2)
	v_cmp_eq_u32_e32 vcc_lo, 0, v14
	v_cndmask_b32_e32 v14, v15, v13, vcc_lo
	s_branch .LBB6_53
.LBB6_70:
	s_or_b32 exec_lo, exec_lo, s0
	s_or_b32 s0, s12, 1
	s_delay_alu instid0(SALU_CYCLE_1)
	s_cmp_ge_i32 s0, s8
	s_cbranch_scc1 .LBB6_34
.LBB6_71:
	scratch_load_b32 v1, off, off offset:16
	s_waitcnt vmcnt(0)
	v_and_b32_e32 v0, 0x7f800000, v1
	s_delay_alu instid0(VALU_DEP_1) | instskip(SKIP_1) | instid1(SALU_CYCLE_1)
	v_cmp_ne_u32_e32 vcc_lo, 0x7f800000, v0
                                        ; implicit-def: $vgpr0
	s_and_saveexec_b32 s1, vcc_lo
	s_xor_b32 s1, exec_lo, s1
; %bb.72:
	v_bfe_u32 v0, v1, 16, 1
	s_delay_alu instid0(VALU_DEP_1)
	v_add3_u32 v0, v1, v0, 0x7fff
                                        ; implicit-def: $vgpr1
; %bb.73:
	s_and_not1_saveexec_b32 s1, s1
; %bb.74:
	v_and_b32_e32 v0, 0xffff, v1
	v_or_b32_e32 v2, 0x10000, v1
	s_delay_alu instid0(VALU_DEP_2) | instskip(NEXT) | instid1(VALU_DEP_2)
	v_cmp_eq_u32_e32 vcc_lo, 0, v0
	v_cndmask_b32_e32 v0, v2, v1, vcc_lo
; %bb.75:
	s_or_b32 exec_lo, exec_lo, s1
	scratch_load_b32 v2, off, off offset:20
	s_waitcnt vmcnt(0)
	v_and_b32_e32 v1, 0x7f800000, v2
	s_delay_alu instid0(VALU_DEP_1) | instskip(SKIP_1) | instid1(SALU_CYCLE_1)
	v_cmp_ne_u32_e32 vcc_lo, 0x7f800000, v1
                                        ; implicit-def: $vgpr1
	s_and_saveexec_b32 s1, vcc_lo
	s_xor_b32 s1, exec_lo, s1
; %bb.76:
	v_bfe_u32 v1, v2, 16, 1
	s_delay_alu instid0(VALU_DEP_1)
	v_add3_u32 v1, v2, v1, 0x7fff
                                        ; implicit-def: $vgpr2
; %bb.77:
	s_and_not1_saveexec_b32 s1, s1
; %bb.78:
	v_and_b32_e32 v1, 0xffff, v2
	v_or_b32_e32 v3, 0x10000, v2
	s_delay_alu instid0(VALU_DEP_2) | instskip(NEXT) | instid1(VALU_DEP_2)
	v_cmp_eq_u32_e32 vcc_lo, 0, v1
	v_cndmask_b32_e32 v1, v3, v2, vcc_lo
; %bb.79:
	s_or_b32 exec_lo, exec_lo, s1
	scratch_load_b32 v2, off, off offset:24
	s_mov_b32 s1, exec_lo
                                        ; implicit-def: $vgpr8
	s_waitcnt vmcnt(0)
	v_and_b32_e32 v3, 0x7f800000, v2
	s_delay_alu instid0(VALU_DEP_1)
	v_cmpx_ne_u32_e32 0x7f800000, v3
	s_xor_b32 s1, exec_lo, s1
; %bb.80:
	v_bfe_u32 v3, v2, 16, 1
	s_delay_alu instid0(VALU_DEP_1)
	v_add3_u32 v8, v2, v3, 0x7fff
                                        ; implicit-def: $vgpr2
; %bb.81:
	s_and_not1_saveexec_b32 s1, s1
; %bb.82:
	v_and_b32_e32 v3, 0xffff, v2
	v_or_b32_e32 v4, 0x10000, v2
	s_delay_alu instid0(VALU_DEP_2) | instskip(NEXT) | instid1(VALU_DEP_2)
	v_cmp_eq_u32_e32 vcc_lo, 0, v3
	v_cndmask_b32_e32 v8, v4, v2, vcc_lo
; %bb.83:
	s_or_b32 exec_lo, exec_lo, s1
	scratch_load_b32 v2, off, off offset:28
	s_mov_b32 s1, exec_lo
                                        ; implicit-def: $vgpr11
	s_waitcnt vmcnt(0)
	v_and_b32_e32 v3, 0x7f800000, v2
	s_delay_alu instid0(VALU_DEP_1)
	v_cmpx_ne_u32_e32 0x7f800000, v3
	s_xor_b32 s1, exec_lo, s1
; %bb.84:
	v_bfe_u32 v3, v2, 16, 1
	s_delay_alu instid0(VALU_DEP_1)
	v_add3_u32 v11, v2, v3, 0x7fff
                                        ; implicit-def: $vgpr2
; %bb.85:
	s_and_not1_saveexec_b32 s1, s1
; %bb.86:
	v_and_b32_e32 v3, 0xffff, v2
	v_or_b32_e32 v4, 0x10000, v2
	s_delay_alu instid0(VALU_DEP_2) | instskip(NEXT) | instid1(VALU_DEP_2)
	v_cmp_eq_u32_e32 vcc_lo, 0, v3
	v_cndmask_b32_e32 v11, v4, v2, vcc_lo
; %bb.87:
	s_or_b32 exec_lo, exec_lo, s1
	s_mul_i32 s0, s0, s9
	v_and_b32_e32 v8, 0xffff0000, v8
	s_ashr_i32 s1, s0, 31
	v_and_b32_e32 v9, 0xffff0000, v1
	s_lshl_b64 s[0:1], s[0:1], 1
	v_and_b32_e32 v10, 0xffff0000, v0
	v_add_co_u32 v4, vcc_lo, v6, s0
	v_add_co_ci_u32_e32 v5, vcc_lo, s1, v7, vcc_lo
	v_and_b32_e32 v11, 0xffff0000, v11
	s_mov_b32 s0, 0
	global_load_b64 v[2:3], v[4:5], off
	s_branch .LBB6_89
.LBB6_88:                               ;   in Loop: Header=BB6_89 Depth=1
	s_or_b32 exec_lo, exec_lo, s1
	v_lshrrev_b32_e32 v1, 16, v1
	s_delay_alu instid0(VALU_DEP_2) | instskip(SKIP_1) | instid1(VALU_DEP_2)
	v_and_b32_e32 v13, 0xffff0000, v14
	v_lshrrev_b32_e32 v0, 16, v0
	v_or_b32_e32 v1, v13, v1
	s_delay_alu instid0(VALU_DEP_2)
	v_and_or_b32 v0, 0xffff0000, v12, v0
	global_atomic_cmpswap_b64 v[0:1], v[4:5], v[0:3], off glc
	s_waitcnt vmcnt(0)
	v_cmp_eq_u64_e32 vcc_lo, v[0:1], v[2:3]
	v_dual_mov_b32 v3, v1 :: v_dual_mov_b32 v2, v0
	s_or_b32 s0, vcc_lo, s0
	s_delay_alu instid0(SALU_CYCLE_1)
	s_and_not1_b32 exec_lo, exec_lo, s0
	s_cbranch_execz .LBB6_105
.LBB6_89:                               ; =>This Inner Loop Header: Depth=1
	s_waitcnt vmcnt(0)
	v_lshlrev_b32_e32 v0, 16, v2
	s_delay_alu instid0(VALU_DEP_1) | instskip(NEXT) | instid1(VALU_DEP_1)
	v_add_f32_e32 v1, v10, v0
	v_and_b32_e32 v0, 0x7f800000, v1
	s_delay_alu instid0(VALU_DEP_1) | instskip(SKIP_1) | instid1(SALU_CYCLE_1)
	v_cmp_ne_u32_e32 vcc_lo, 0x7f800000, v0
                                        ; implicit-def: $vgpr0
	s_and_saveexec_b32 s1, vcc_lo
	s_xor_b32 s1, exec_lo, s1
; %bb.90:                               ;   in Loop: Header=BB6_89 Depth=1
	v_bfe_u32 v0, v1, 16, 1
	s_delay_alu instid0(VALU_DEP_1)
	v_add3_u32 v0, v1, v0, 0x7fff
                                        ; implicit-def: $vgpr1
; %bb.91:                               ;   in Loop: Header=BB6_89 Depth=1
	s_and_not1_saveexec_b32 s1, s1
; %bb.92:                               ;   in Loop: Header=BB6_89 Depth=1
	v_and_b32_e32 v0, 0xffff, v1
	v_or_b32_e32 v12, 0x10000, v1
	s_delay_alu instid0(VALU_DEP_2) | instskip(NEXT) | instid1(VALU_DEP_2)
	v_cmp_eq_u32_e32 vcc_lo, 0, v0
	v_cndmask_b32_e32 v0, v12, v1, vcc_lo
; %bb.93:                               ;   in Loop: Header=BB6_89 Depth=1
	s_or_b32 exec_lo, exec_lo, s1
	v_and_b32_e32 v1, 0xffff0000, v2
	s_delay_alu instid0(VALU_DEP_1) | instskip(NEXT) | instid1(VALU_DEP_1)
	v_add_f32_e32 v1, v9, v1
	v_and_b32_e32 v12, 0x7f800000, v1
	s_delay_alu instid0(VALU_DEP_1) | instskip(SKIP_1) | instid1(SALU_CYCLE_1)
	v_cmp_ne_u32_e32 vcc_lo, 0x7f800000, v12
                                        ; implicit-def: $vgpr12
	s_and_saveexec_b32 s1, vcc_lo
	s_xor_b32 s1, exec_lo, s1
; %bb.94:                               ;   in Loop: Header=BB6_89 Depth=1
	v_bfe_u32 v12, v1, 16, 1
	s_delay_alu instid0(VALU_DEP_1)
	v_add3_u32 v12, v1, v12, 0x7fff
                                        ; implicit-def: $vgpr1
; %bb.95:                               ;   in Loop: Header=BB6_89 Depth=1
	s_and_not1_saveexec_b32 s1, s1
; %bb.96:                               ;   in Loop: Header=BB6_89 Depth=1
	v_and_b32_e32 v12, 0xffff, v1
	v_or_b32_e32 v13, 0x10000, v1
	s_delay_alu instid0(VALU_DEP_2) | instskip(NEXT) | instid1(VALU_DEP_2)
	v_cmp_eq_u32_e32 vcc_lo, 0, v12
	v_cndmask_b32_e32 v12, v13, v1, vcc_lo
; %bb.97:                               ;   in Loop: Header=BB6_89 Depth=1
	s_or_b32 exec_lo, exec_lo, s1
	v_alignbit_b32 v1, v3, v2, 16
	s_delay_alu instid0(VALU_DEP_1) | instskip(NEXT) | instid1(VALU_DEP_1)
	v_and_b32_e32 v1, 0xffff0000, v1
	v_add_f32_e32 v13, v8, v1
	s_delay_alu instid0(VALU_DEP_1) | instskip(NEXT) | instid1(VALU_DEP_1)
	v_and_b32_e32 v1, 0x7f800000, v13
	v_cmp_ne_u32_e32 vcc_lo, 0x7f800000, v1
                                        ; implicit-def: $vgpr1
	s_and_saveexec_b32 s1, vcc_lo
	s_delay_alu instid0(SALU_CYCLE_1)
	s_xor_b32 s1, exec_lo, s1
; %bb.98:                               ;   in Loop: Header=BB6_89 Depth=1
	v_bfe_u32 v1, v13, 16, 1
	s_delay_alu instid0(VALU_DEP_1)
	v_add3_u32 v1, v13, v1, 0x7fff
                                        ; implicit-def: $vgpr13
; %bb.99:                               ;   in Loop: Header=BB6_89 Depth=1
	s_and_not1_saveexec_b32 s1, s1
; %bb.100:                              ;   in Loop: Header=BB6_89 Depth=1
	v_and_b32_e32 v1, 0xffff, v13
	v_or_b32_e32 v14, 0x10000, v13
	s_delay_alu instid0(VALU_DEP_2) | instskip(NEXT) | instid1(VALU_DEP_2)
	v_cmp_eq_u32_e32 vcc_lo, 0, v1
	v_cndmask_b32_e32 v1, v14, v13, vcc_lo
; %bb.101:                              ;   in Loop: Header=BB6_89 Depth=1
	s_or_b32 exec_lo, exec_lo, s1
	v_and_b32_e32 v13, 0xffff0000, v3
	s_delay_alu instid0(VALU_DEP_1) | instskip(NEXT) | instid1(VALU_DEP_1)
	v_add_f32_e32 v13, v11, v13
	v_and_b32_e32 v14, 0x7f800000, v13
	s_delay_alu instid0(VALU_DEP_1) | instskip(SKIP_1) | instid1(SALU_CYCLE_1)
	v_cmp_ne_u32_e32 vcc_lo, 0x7f800000, v14
                                        ; implicit-def: $vgpr14
	s_and_saveexec_b32 s1, vcc_lo
	s_xor_b32 s1, exec_lo, s1
; %bb.102:                              ;   in Loop: Header=BB6_89 Depth=1
	v_bfe_u32 v14, v13, 16, 1
	s_delay_alu instid0(VALU_DEP_1)
	v_add3_u32 v14, v13, v14, 0x7fff
                                        ; implicit-def: $vgpr13
; %bb.103:                              ;   in Loop: Header=BB6_89 Depth=1
	s_and_not1_saveexec_b32 s1, s1
	s_cbranch_execz .LBB6_88
; %bb.104:                              ;   in Loop: Header=BB6_89 Depth=1
	v_and_b32_e32 v14, 0xffff, v13
	v_or_b32_e32 v15, 0x10000, v13
	s_delay_alu instid0(VALU_DEP_2) | instskip(NEXT) | instid1(VALU_DEP_2)
	v_cmp_eq_u32_e32 vcc_lo, 0, v14
	v_cndmask_b32_e32 v14, v15, v13, vcc_lo
	s_branch .LBB6_88
.LBB6_105:
	s_or_b32 exec_lo, exec_lo, s0
	s_or_b32 s0, s12, 2
	s_delay_alu instid0(SALU_CYCLE_1)
	s_cmp_ge_i32 s0, s8
	s_cbranch_scc1 .LBB6_35
.LBB6_106:
	scratch_load_b32 v1, off, off offset:32
	s_waitcnt vmcnt(0)
	v_and_b32_e32 v0, 0x7f800000, v1
	s_delay_alu instid0(VALU_DEP_1) | instskip(SKIP_1) | instid1(SALU_CYCLE_1)
	v_cmp_ne_u32_e32 vcc_lo, 0x7f800000, v0
                                        ; implicit-def: $vgpr0
	s_and_saveexec_b32 s1, vcc_lo
	s_xor_b32 s1, exec_lo, s1
; %bb.107:
	v_bfe_u32 v0, v1, 16, 1
	s_delay_alu instid0(VALU_DEP_1)
	v_add3_u32 v0, v1, v0, 0x7fff
                                        ; implicit-def: $vgpr1
; %bb.108:
	s_and_not1_saveexec_b32 s1, s1
; %bb.109:
	v_and_b32_e32 v0, 0xffff, v1
	v_or_b32_e32 v2, 0x10000, v1
	s_delay_alu instid0(VALU_DEP_2) | instskip(NEXT) | instid1(VALU_DEP_2)
	v_cmp_eq_u32_e32 vcc_lo, 0, v0
	v_cndmask_b32_e32 v0, v2, v1, vcc_lo
; %bb.110:
	s_or_b32 exec_lo, exec_lo, s1
	scratch_load_b32 v2, off, off offset:36
	s_waitcnt vmcnt(0)
	v_and_b32_e32 v1, 0x7f800000, v2
	s_delay_alu instid0(VALU_DEP_1) | instskip(SKIP_1) | instid1(SALU_CYCLE_1)
	v_cmp_ne_u32_e32 vcc_lo, 0x7f800000, v1
                                        ; implicit-def: $vgpr1
	s_and_saveexec_b32 s1, vcc_lo
	s_xor_b32 s1, exec_lo, s1
; %bb.111:
	v_bfe_u32 v1, v2, 16, 1
	s_delay_alu instid0(VALU_DEP_1)
	v_add3_u32 v1, v2, v1, 0x7fff
                                        ; implicit-def: $vgpr2
; %bb.112:
	s_and_not1_saveexec_b32 s1, s1
; %bb.113:
	v_and_b32_e32 v1, 0xffff, v2
	v_or_b32_e32 v3, 0x10000, v2
	s_delay_alu instid0(VALU_DEP_2) | instskip(NEXT) | instid1(VALU_DEP_2)
	v_cmp_eq_u32_e32 vcc_lo, 0, v1
	v_cndmask_b32_e32 v1, v3, v2, vcc_lo
; %bb.114:
	s_or_b32 exec_lo, exec_lo, s1
	scratch_load_b32 v2, off, off offset:40
	s_mov_b32 s1, exec_lo
                                        ; implicit-def: $vgpr8
	s_waitcnt vmcnt(0)
	v_and_b32_e32 v3, 0x7f800000, v2
	s_delay_alu instid0(VALU_DEP_1)
	v_cmpx_ne_u32_e32 0x7f800000, v3
	s_xor_b32 s1, exec_lo, s1
; %bb.115:
	v_bfe_u32 v3, v2, 16, 1
	s_delay_alu instid0(VALU_DEP_1)
	v_add3_u32 v8, v2, v3, 0x7fff
                                        ; implicit-def: $vgpr2
; %bb.116:
	s_and_not1_saveexec_b32 s1, s1
; %bb.117:
	v_and_b32_e32 v3, 0xffff, v2
	v_or_b32_e32 v4, 0x10000, v2
	s_delay_alu instid0(VALU_DEP_2) | instskip(NEXT) | instid1(VALU_DEP_2)
	v_cmp_eq_u32_e32 vcc_lo, 0, v3
	v_cndmask_b32_e32 v8, v4, v2, vcc_lo
; %bb.118:
	s_or_b32 exec_lo, exec_lo, s1
	scratch_load_b32 v2, off, off offset:44
	s_mov_b32 s1, exec_lo
                                        ; implicit-def: $vgpr11
	s_waitcnt vmcnt(0)
	v_and_b32_e32 v3, 0x7f800000, v2
	s_delay_alu instid0(VALU_DEP_1)
	v_cmpx_ne_u32_e32 0x7f800000, v3
	s_xor_b32 s1, exec_lo, s1
; %bb.119:
	v_bfe_u32 v3, v2, 16, 1
	s_delay_alu instid0(VALU_DEP_1)
	v_add3_u32 v11, v2, v3, 0x7fff
                                        ; implicit-def: $vgpr2
; %bb.120:
	s_and_not1_saveexec_b32 s1, s1
; %bb.121:
	v_and_b32_e32 v3, 0xffff, v2
	v_or_b32_e32 v4, 0x10000, v2
	s_delay_alu instid0(VALU_DEP_2) | instskip(NEXT) | instid1(VALU_DEP_2)
	v_cmp_eq_u32_e32 vcc_lo, 0, v3
	v_cndmask_b32_e32 v11, v4, v2, vcc_lo
; %bb.122:
	s_or_b32 exec_lo, exec_lo, s1
	s_mul_i32 s0, s0, s9
	v_and_b32_e32 v8, 0xffff0000, v8
	s_ashr_i32 s1, s0, 31
	v_and_b32_e32 v9, 0xffff0000, v1
	s_lshl_b64 s[0:1], s[0:1], 1
	v_and_b32_e32 v10, 0xffff0000, v0
	v_add_co_u32 v4, vcc_lo, v6, s0
	v_add_co_ci_u32_e32 v5, vcc_lo, s1, v7, vcc_lo
	v_and_b32_e32 v11, 0xffff0000, v11
	s_mov_b32 s0, 0
	global_load_b64 v[2:3], v[4:5], off
	s_branch .LBB6_124
.LBB6_123:                              ;   in Loop: Header=BB6_124 Depth=1
	s_or_b32 exec_lo, exec_lo, s1
	v_lshrrev_b32_e32 v1, 16, v1
	s_delay_alu instid0(VALU_DEP_2) | instskip(SKIP_1) | instid1(VALU_DEP_2)
	v_and_b32_e32 v13, 0xffff0000, v14
	v_lshrrev_b32_e32 v0, 16, v0
	v_or_b32_e32 v1, v13, v1
	s_delay_alu instid0(VALU_DEP_2)
	v_and_or_b32 v0, 0xffff0000, v12, v0
	global_atomic_cmpswap_b64 v[0:1], v[4:5], v[0:3], off glc
	s_waitcnt vmcnt(0)
	v_cmp_eq_u64_e32 vcc_lo, v[0:1], v[2:3]
	v_dual_mov_b32 v3, v1 :: v_dual_mov_b32 v2, v0
	s_or_b32 s0, vcc_lo, s0
	s_delay_alu instid0(SALU_CYCLE_1)
	s_and_not1_b32 exec_lo, exec_lo, s0
	s_cbranch_execz .LBB6_140
.LBB6_124:                              ; =>This Inner Loop Header: Depth=1
	s_waitcnt vmcnt(0)
	v_lshlrev_b32_e32 v0, 16, v2
	s_delay_alu instid0(VALU_DEP_1) | instskip(NEXT) | instid1(VALU_DEP_1)
	v_add_f32_e32 v1, v10, v0
	v_and_b32_e32 v0, 0x7f800000, v1
	s_delay_alu instid0(VALU_DEP_1) | instskip(SKIP_1) | instid1(SALU_CYCLE_1)
	v_cmp_ne_u32_e32 vcc_lo, 0x7f800000, v0
                                        ; implicit-def: $vgpr0
	s_and_saveexec_b32 s1, vcc_lo
	s_xor_b32 s1, exec_lo, s1
; %bb.125:                              ;   in Loop: Header=BB6_124 Depth=1
	v_bfe_u32 v0, v1, 16, 1
	s_delay_alu instid0(VALU_DEP_1)
	v_add3_u32 v0, v1, v0, 0x7fff
                                        ; implicit-def: $vgpr1
; %bb.126:                              ;   in Loop: Header=BB6_124 Depth=1
	s_and_not1_saveexec_b32 s1, s1
; %bb.127:                              ;   in Loop: Header=BB6_124 Depth=1
	v_and_b32_e32 v0, 0xffff, v1
	v_or_b32_e32 v12, 0x10000, v1
	s_delay_alu instid0(VALU_DEP_2) | instskip(NEXT) | instid1(VALU_DEP_2)
	v_cmp_eq_u32_e32 vcc_lo, 0, v0
	v_cndmask_b32_e32 v0, v12, v1, vcc_lo
; %bb.128:                              ;   in Loop: Header=BB6_124 Depth=1
	s_or_b32 exec_lo, exec_lo, s1
	v_and_b32_e32 v1, 0xffff0000, v2
	s_delay_alu instid0(VALU_DEP_1) | instskip(NEXT) | instid1(VALU_DEP_1)
	v_add_f32_e32 v1, v9, v1
	v_and_b32_e32 v12, 0x7f800000, v1
	s_delay_alu instid0(VALU_DEP_1) | instskip(SKIP_1) | instid1(SALU_CYCLE_1)
	v_cmp_ne_u32_e32 vcc_lo, 0x7f800000, v12
                                        ; implicit-def: $vgpr12
	s_and_saveexec_b32 s1, vcc_lo
	s_xor_b32 s1, exec_lo, s1
; %bb.129:                              ;   in Loop: Header=BB6_124 Depth=1
	v_bfe_u32 v12, v1, 16, 1
	s_delay_alu instid0(VALU_DEP_1)
	v_add3_u32 v12, v1, v12, 0x7fff
                                        ; implicit-def: $vgpr1
; %bb.130:                              ;   in Loop: Header=BB6_124 Depth=1
	s_and_not1_saveexec_b32 s1, s1
; %bb.131:                              ;   in Loop: Header=BB6_124 Depth=1
	v_and_b32_e32 v12, 0xffff, v1
	v_or_b32_e32 v13, 0x10000, v1
	s_delay_alu instid0(VALU_DEP_2) | instskip(NEXT) | instid1(VALU_DEP_2)
	v_cmp_eq_u32_e32 vcc_lo, 0, v12
	v_cndmask_b32_e32 v12, v13, v1, vcc_lo
; %bb.132:                              ;   in Loop: Header=BB6_124 Depth=1
	s_or_b32 exec_lo, exec_lo, s1
	v_alignbit_b32 v1, v3, v2, 16
	s_delay_alu instid0(VALU_DEP_1) | instskip(NEXT) | instid1(VALU_DEP_1)
	v_and_b32_e32 v1, 0xffff0000, v1
	v_add_f32_e32 v13, v8, v1
	s_delay_alu instid0(VALU_DEP_1) | instskip(NEXT) | instid1(VALU_DEP_1)
	v_and_b32_e32 v1, 0x7f800000, v13
	v_cmp_ne_u32_e32 vcc_lo, 0x7f800000, v1
                                        ; implicit-def: $vgpr1
	s_and_saveexec_b32 s1, vcc_lo
	s_delay_alu instid0(SALU_CYCLE_1)
	s_xor_b32 s1, exec_lo, s1
; %bb.133:                              ;   in Loop: Header=BB6_124 Depth=1
	v_bfe_u32 v1, v13, 16, 1
	s_delay_alu instid0(VALU_DEP_1)
	v_add3_u32 v1, v13, v1, 0x7fff
                                        ; implicit-def: $vgpr13
; %bb.134:                              ;   in Loop: Header=BB6_124 Depth=1
	s_and_not1_saveexec_b32 s1, s1
; %bb.135:                              ;   in Loop: Header=BB6_124 Depth=1
	v_and_b32_e32 v1, 0xffff, v13
	v_or_b32_e32 v14, 0x10000, v13
	s_delay_alu instid0(VALU_DEP_2) | instskip(NEXT) | instid1(VALU_DEP_2)
	v_cmp_eq_u32_e32 vcc_lo, 0, v1
	v_cndmask_b32_e32 v1, v14, v13, vcc_lo
; %bb.136:                              ;   in Loop: Header=BB6_124 Depth=1
	s_or_b32 exec_lo, exec_lo, s1
	v_and_b32_e32 v13, 0xffff0000, v3
	s_delay_alu instid0(VALU_DEP_1) | instskip(NEXT) | instid1(VALU_DEP_1)
	v_add_f32_e32 v13, v11, v13
	v_and_b32_e32 v14, 0x7f800000, v13
	s_delay_alu instid0(VALU_DEP_1) | instskip(SKIP_1) | instid1(SALU_CYCLE_1)
	v_cmp_ne_u32_e32 vcc_lo, 0x7f800000, v14
                                        ; implicit-def: $vgpr14
	s_and_saveexec_b32 s1, vcc_lo
	s_xor_b32 s1, exec_lo, s1
; %bb.137:                              ;   in Loop: Header=BB6_124 Depth=1
	v_bfe_u32 v14, v13, 16, 1
	s_delay_alu instid0(VALU_DEP_1)
	v_add3_u32 v14, v13, v14, 0x7fff
                                        ; implicit-def: $vgpr13
; %bb.138:                              ;   in Loop: Header=BB6_124 Depth=1
	s_and_not1_saveexec_b32 s1, s1
	s_cbranch_execz .LBB6_123
; %bb.139:                              ;   in Loop: Header=BB6_124 Depth=1
	v_and_b32_e32 v14, 0xffff, v13
	v_or_b32_e32 v15, 0x10000, v13
	s_delay_alu instid0(VALU_DEP_2) | instskip(NEXT) | instid1(VALU_DEP_2)
	v_cmp_eq_u32_e32 vcc_lo, 0, v14
	v_cndmask_b32_e32 v14, v15, v13, vcc_lo
	s_branch .LBB6_123
.LBB6_140:
	s_or_b32 exec_lo, exec_lo, s0
	s_or_b32 s0, s12, 3
	s_delay_alu instid0(SALU_CYCLE_1)
	s_cmp_ge_i32 s0, s8
	s_cbranch_scc1 .LBB6_175
.LBB6_141:
	scratch_load_b32 v1, off, off offset:48
	s_waitcnt vmcnt(0)
	v_and_b32_e32 v0, 0x7f800000, v1
	s_delay_alu instid0(VALU_DEP_1) | instskip(SKIP_1) | instid1(SALU_CYCLE_1)
	v_cmp_ne_u32_e32 vcc_lo, 0x7f800000, v0
                                        ; implicit-def: $vgpr0
	s_and_saveexec_b32 s1, vcc_lo
	s_xor_b32 s1, exec_lo, s1
; %bb.142:
	v_bfe_u32 v0, v1, 16, 1
	s_delay_alu instid0(VALU_DEP_1)
	v_add3_u32 v0, v1, v0, 0x7fff
                                        ; implicit-def: $vgpr1
; %bb.143:
	s_and_not1_saveexec_b32 s1, s1
; %bb.144:
	v_and_b32_e32 v0, 0xffff, v1
	v_or_b32_e32 v2, 0x10000, v1
	s_delay_alu instid0(VALU_DEP_2) | instskip(NEXT) | instid1(VALU_DEP_2)
	v_cmp_eq_u32_e32 vcc_lo, 0, v0
	v_cndmask_b32_e32 v0, v2, v1, vcc_lo
; %bb.145:
	s_or_b32 exec_lo, exec_lo, s1
	scratch_load_b32 v2, off, off offset:52
	s_waitcnt vmcnt(0)
	v_and_b32_e32 v1, 0x7f800000, v2
	s_delay_alu instid0(VALU_DEP_1) | instskip(SKIP_1) | instid1(SALU_CYCLE_1)
	v_cmp_ne_u32_e32 vcc_lo, 0x7f800000, v1
                                        ; implicit-def: $vgpr1
	s_and_saveexec_b32 s1, vcc_lo
	s_xor_b32 s1, exec_lo, s1
; %bb.146:
	v_bfe_u32 v1, v2, 16, 1
	s_delay_alu instid0(VALU_DEP_1)
	v_add3_u32 v1, v2, v1, 0x7fff
                                        ; implicit-def: $vgpr2
; %bb.147:
	s_and_not1_saveexec_b32 s1, s1
; %bb.148:
	v_and_b32_e32 v1, 0xffff, v2
	v_or_b32_e32 v3, 0x10000, v2
	s_delay_alu instid0(VALU_DEP_2) | instskip(NEXT) | instid1(VALU_DEP_2)
	v_cmp_eq_u32_e32 vcc_lo, 0, v1
	v_cndmask_b32_e32 v1, v3, v2, vcc_lo
; %bb.149:
	s_or_b32 exec_lo, exec_lo, s1
	scratch_load_b32 v2, off, off offset:56
	s_mov_b32 s1, exec_lo
                                        ; implicit-def: $vgpr8
	s_waitcnt vmcnt(0)
	v_and_b32_e32 v3, 0x7f800000, v2
	s_delay_alu instid0(VALU_DEP_1)
	v_cmpx_ne_u32_e32 0x7f800000, v3
	s_xor_b32 s1, exec_lo, s1
; %bb.150:
	v_bfe_u32 v3, v2, 16, 1
	s_delay_alu instid0(VALU_DEP_1)
	v_add3_u32 v8, v2, v3, 0x7fff
                                        ; implicit-def: $vgpr2
; %bb.151:
	s_and_not1_saveexec_b32 s1, s1
; %bb.152:
	v_and_b32_e32 v3, 0xffff, v2
	v_or_b32_e32 v4, 0x10000, v2
	s_delay_alu instid0(VALU_DEP_2) | instskip(NEXT) | instid1(VALU_DEP_2)
	v_cmp_eq_u32_e32 vcc_lo, 0, v3
	v_cndmask_b32_e32 v8, v4, v2, vcc_lo
; %bb.153:
	s_or_b32 exec_lo, exec_lo, s1
	scratch_load_b32 v2, off, off offset:60
	s_mov_b32 s1, exec_lo
                                        ; implicit-def: $vgpr9
	s_waitcnt vmcnt(0)
	v_and_b32_e32 v3, 0x7f800000, v2
	s_delay_alu instid0(VALU_DEP_1)
	v_cmpx_ne_u32_e32 0x7f800000, v3
	s_xor_b32 s1, exec_lo, s1
; %bb.154:
	v_bfe_u32 v3, v2, 16, 1
	s_delay_alu instid0(VALU_DEP_1)
	v_add3_u32 v9, v2, v3, 0x7fff
                                        ; implicit-def: $vgpr2
; %bb.155:
	s_and_not1_saveexec_b32 s1, s1
; %bb.156:
	v_and_b32_e32 v3, 0xffff, v2
	v_or_b32_e32 v4, 0x10000, v2
	s_delay_alu instid0(VALU_DEP_2) | instskip(NEXT) | instid1(VALU_DEP_2)
	v_cmp_eq_u32_e32 vcc_lo, 0, v3
	v_cndmask_b32_e32 v9, v4, v2, vcc_lo
; %bb.157:
	s_or_b32 exec_lo, exec_lo, s1
	s_mul_i32 s0, s0, s9
	s_delay_alu instid0(VALU_DEP_1) | instskip(SKIP_1) | instid1(SALU_CYCLE_1)
	v_and_b32_e32 v9, 0xffff0000, v9
	s_ashr_i32 s1, s0, 31
	s_lshl_b64 s[0:1], s[0:1], 1
	s_delay_alu instid0(SALU_CYCLE_1)
	v_add_co_u32 v4, vcc_lo, v6, s0
	v_add_co_ci_u32_e32 v5, vcc_lo, s1, v7, vcc_lo
	v_and_b32_e32 v6, 0xffff0000, v8
	v_and_b32_e32 v7, 0xffff0000, v1
	v_and_b32_e32 v8, 0xffff0000, v0
	global_load_b64 v[2:3], v[4:5], off
	s_mov_b32 s0, 0
	s_branch .LBB6_159
.LBB6_158:                              ;   in Loop: Header=BB6_159 Depth=1
	s_or_b32 exec_lo, exec_lo, s1
	v_lshrrev_b32_e32 v1, 16, v1
	s_delay_alu instid0(VALU_DEP_2) | instskip(SKIP_1) | instid1(VALU_DEP_2)
	v_and_b32_e32 v11, 0xffff0000, v12
	v_lshrrev_b32_e32 v0, 16, v0
	v_or_b32_e32 v1, v11, v1
	s_delay_alu instid0(VALU_DEP_2)
	v_and_or_b32 v0, 0xffff0000, v10, v0
	global_atomic_cmpswap_b64 v[0:1], v[4:5], v[0:3], off glc
	s_waitcnt vmcnt(0)
	v_cmp_eq_u64_e32 vcc_lo, v[0:1], v[2:3]
	v_dual_mov_b32 v3, v1 :: v_dual_mov_b32 v2, v0
	s_or_b32 s0, vcc_lo, s0
	s_delay_alu instid0(SALU_CYCLE_1)
	s_and_not1_b32 exec_lo, exec_lo, s0
	s_cbranch_execz .LBB6_175
.LBB6_159:                              ; =>This Inner Loop Header: Depth=1
	s_waitcnt vmcnt(0)
	v_lshlrev_b32_e32 v0, 16, v2
	s_delay_alu instid0(VALU_DEP_1) | instskip(NEXT) | instid1(VALU_DEP_1)
	v_add_f32_e32 v1, v8, v0
	v_and_b32_e32 v0, 0x7f800000, v1
	s_delay_alu instid0(VALU_DEP_1) | instskip(SKIP_1) | instid1(SALU_CYCLE_1)
	v_cmp_ne_u32_e32 vcc_lo, 0x7f800000, v0
                                        ; implicit-def: $vgpr0
	s_and_saveexec_b32 s1, vcc_lo
	s_xor_b32 s1, exec_lo, s1
; %bb.160:                              ;   in Loop: Header=BB6_159 Depth=1
	v_bfe_u32 v0, v1, 16, 1
	s_delay_alu instid0(VALU_DEP_1)
	v_add3_u32 v0, v1, v0, 0x7fff
                                        ; implicit-def: $vgpr1
; %bb.161:                              ;   in Loop: Header=BB6_159 Depth=1
	s_and_not1_saveexec_b32 s1, s1
; %bb.162:                              ;   in Loop: Header=BB6_159 Depth=1
	v_and_b32_e32 v0, 0xffff, v1
	v_or_b32_e32 v10, 0x10000, v1
	s_delay_alu instid0(VALU_DEP_2) | instskip(NEXT) | instid1(VALU_DEP_2)
	v_cmp_eq_u32_e32 vcc_lo, 0, v0
	v_cndmask_b32_e32 v0, v10, v1, vcc_lo
; %bb.163:                              ;   in Loop: Header=BB6_159 Depth=1
	s_or_b32 exec_lo, exec_lo, s1
	v_and_b32_e32 v1, 0xffff0000, v2
	s_delay_alu instid0(VALU_DEP_1) | instskip(NEXT) | instid1(VALU_DEP_1)
	v_add_f32_e32 v1, v7, v1
	v_and_b32_e32 v10, 0x7f800000, v1
	s_delay_alu instid0(VALU_DEP_1) | instskip(SKIP_1) | instid1(SALU_CYCLE_1)
	v_cmp_ne_u32_e32 vcc_lo, 0x7f800000, v10
                                        ; implicit-def: $vgpr10
	s_and_saveexec_b32 s1, vcc_lo
	s_xor_b32 s1, exec_lo, s1
; %bb.164:                              ;   in Loop: Header=BB6_159 Depth=1
	v_bfe_u32 v10, v1, 16, 1
	s_delay_alu instid0(VALU_DEP_1)
	v_add3_u32 v10, v1, v10, 0x7fff
                                        ; implicit-def: $vgpr1
; %bb.165:                              ;   in Loop: Header=BB6_159 Depth=1
	s_and_not1_saveexec_b32 s1, s1
; %bb.166:                              ;   in Loop: Header=BB6_159 Depth=1
	v_and_b32_e32 v10, 0xffff, v1
	v_or_b32_e32 v11, 0x10000, v1
	s_delay_alu instid0(VALU_DEP_2) | instskip(NEXT) | instid1(VALU_DEP_2)
	v_cmp_eq_u32_e32 vcc_lo, 0, v10
	v_cndmask_b32_e32 v10, v11, v1, vcc_lo
; %bb.167:                              ;   in Loop: Header=BB6_159 Depth=1
	s_or_b32 exec_lo, exec_lo, s1
	v_alignbit_b32 v1, v3, v2, 16
	s_delay_alu instid0(VALU_DEP_1) | instskip(NEXT) | instid1(VALU_DEP_1)
	v_and_b32_e32 v1, 0xffff0000, v1
	v_add_f32_e32 v11, v6, v1
	s_delay_alu instid0(VALU_DEP_1) | instskip(NEXT) | instid1(VALU_DEP_1)
	v_and_b32_e32 v1, 0x7f800000, v11
	v_cmp_ne_u32_e32 vcc_lo, 0x7f800000, v1
                                        ; implicit-def: $vgpr1
	s_and_saveexec_b32 s1, vcc_lo
	s_delay_alu instid0(SALU_CYCLE_1)
	s_xor_b32 s1, exec_lo, s1
; %bb.168:                              ;   in Loop: Header=BB6_159 Depth=1
	v_bfe_u32 v1, v11, 16, 1
	s_delay_alu instid0(VALU_DEP_1)
	v_add3_u32 v1, v11, v1, 0x7fff
                                        ; implicit-def: $vgpr11
; %bb.169:                              ;   in Loop: Header=BB6_159 Depth=1
	s_and_not1_saveexec_b32 s1, s1
; %bb.170:                              ;   in Loop: Header=BB6_159 Depth=1
	v_and_b32_e32 v1, 0xffff, v11
	v_or_b32_e32 v12, 0x10000, v11
	s_delay_alu instid0(VALU_DEP_2) | instskip(NEXT) | instid1(VALU_DEP_2)
	v_cmp_eq_u32_e32 vcc_lo, 0, v1
	v_cndmask_b32_e32 v1, v12, v11, vcc_lo
; %bb.171:                              ;   in Loop: Header=BB6_159 Depth=1
	s_or_b32 exec_lo, exec_lo, s1
	v_and_b32_e32 v11, 0xffff0000, v3
	s_delay_alu instid0(VALU_DEP_1) | instskip(NEXT) | instid1(VALU_DEP_1)
	v_add_f32_e32 v11, v9, v11
	v_and_b32_e32 v12, 0x7f800000, v11
	s_delay_alu instid0(VALU_DEP_1) | instskip(SKIP_1) | instid1(SALU_CYCLE_1)
	v_cmp_ne_u32_e32 vcc_lo, 0x7f800000, v12
                                        ; implicit-def: $vgpr12
	s_and_saveexec_b32 s1, vcc_lo
	s_xor_b32 s1, exec_lo, s1
; %bb.172:                              ;   in Loop: Header=BB6_159 Depth=1
	v_bfe_u32 v12, v11, 16, 1
	s_delay_alu instid0(VALU_DEP_1)
	v_add3_u32 v12, v11, v12, 0x7fff
                                        ; implicit-def: $vgpr11
; %bb.173:                              ;   in Loop: Header=BB6_159 Depth=1
	s_and_not1_saveexec_b32 s1, s1
	s_cbranch_execz .LBB6_158
; %bb.174:                              ;   in Loop: Header=BB6_159 Depth=1
	v_and_b32_e32 v12, 0xffff, v11
	v_or_b32_e32 v13, 0x10000, v11
	s_delay_alu instid0(VALU_DEP_2) | instskip(NEXT) | instid1(VALU_DEP_2)
	v_cmp_eq_u32_e32 vcc_lo, 0, v12
	v_cndmask_b32_e32 v12, v13, v11, vcc_lo
	s_branch .LBB6_158
.LBB6_175:
	s_endpgm
	.section	.rodata,"a",@progbits
	.p2align	6, 0x0
	.amdhsa_kernel _ZN4vllm10gptq_rdna320gemm_q4_kernel_rdna3I14__hip_bfloat16Li4EEEvPKT_PKjS7_S5_PS3_iiiiiPKi
		.amdhsa_group_segment_fixed_size 18496
		.amdhsa_private_segment_fixed_size 80
		.amdhsa_kernarg_size 72
		.amdhsa_user_sgpr_count 13
		.amdhsa_user_sgpr_dispatch_ptr 1
		.amdhsa_user_sgpr_queue_ptr 0
		.amdhsa_user_sgpr_kernarg_segment_ptr 1
		.amdhsa_user_sgpr_dispatch_id 0
		.amdhsa_user_sgpr_private_segment_size 0
		.amdhsa_wavefront_size32 1
		.amdhsa_uses_dynamic_stack 0
		.amdhsa_enable_private_segment 1
		.amdhsa_system_sgpr_workgroup_id_x 1
		.amdhsa_system_sgpr_workgroup_id_y 1
		.amdhsa_system_sgpr_workgroup_id_z 1
		.amdhsa_system_sgpr_workgroup_info 0
		.amdhsa_system_vgpr_workitem_id 2
		.amdhsa_next_free_vgpr 54
		.amdhsa_next_free_sgpr 28
		.amdhsa_reserve_vcc 1
		.amdhsa_float_round_mode_32 0
		.amdhsa_float_round_mode_16_64 0
		.amdhsa_float_denorm_mode_32 3
		.amdhsa_float_denorm_mode_16_64 3
		.amdhsa_dx10_clamp 1
		.amdhsa_ieee_mode 1
		.amdhsa_fp16_overflow 0
		.amdhsa_workgroup_processor_mode 1
		.amdhsa_memory_ordered 1
		.amdhsa_forward_progress 0
		.amdhsa_shared_vgpr_count 0
		.amdhsa_exception_fp_ieee_invalid_op 0
		.amdhsa_exception_fp_denorm_src 0
		.amdhsa_exception_fp_ieee_div_zero 0
		.amdhsa_exception_fp_ieee_overflow 0
		.amdhsa_exception_fp_ieee_underflow 0
		.amdhsa_exception_fp_ieee_inexact 0
		.amdhsa_exception_int_div_zero 0
	.end_amdhsa_kernel
	.section	.text._ZN4vllm10gptq_rdna320gemm_q4_kernel_rdna3I14__hip_bfloat16Li4EEEvPKT_PKjS7_S5_PS3_iiiiiPKi,"axG",@progbits,_ZN4vllm10gptq_rdna320gemm_q4_kernel_rdna3I14__hip_bfloat16Li4EEEvPKT_PKjS7_S5_PS3_iiiiiPKi,comdat
.Lfunc_end6:
	.size	_ZN4vllm10gptq_rdna320gemm_q4_kernel_rdna3I14__hip_bfloat16Li4EEEvPKT_PKjS7_S5_PS3_iiiiiPKi, .Lfunc_end6-_ZN4vllm10gptq_rdna320gemm_q4_kernel_rdna3I14__hip_bfloat16Li4EEEvPKT_PKjS7_S5_PS3_iiiiiPKi
                                        ; -- End function
	.section	.AMDGPU.csdata,"",@progbits
; Kernel info:
; codeLenInByte = 8852
; NumSgprs: 30
; NumVgprs: 54
; ScratchSize: 80
; MemoryBound: 0
; FloatMode: 240
; IeeeMode: 1
; LDSByteSize: 18496 bytes/workgroup (compile time only)
; SGPRBlocks: 3
; VGPRBlocks: 6
; NumSGPRsForWavesPerEU: 30
; NumVGPRsForWavesPerEU: 54
; Occupancy: 16
; WaveLimiterHint : 0
; COMPUTE_PGM_RSRC2:SCRATCH_EN: 1
; COMPUTE_PGM_RSRC2:USER_SGPR: 13
; COMPUTE_PGM_RSRC2:TRAP_HANDLER: 0
; COMPUTE_PGM_RSRC2:TGID_X_EN: 1
; COMPUTE_PGM_RSRC2:TGID_Y_EN: 1
; COMPUTE_PGM_RSRC2:TGID_Z_EN: 1
; COMPUTE_PGM_RSRC2:TIDIG_COMP_CNT: 2
	.section	.text._ZN4vllm10gptq_rdna320gemm_q4_kernel_rdna3I14__hip_bfloat16Li8EEEvPKT_PKjS7_S5_PS3_iiiiiPKi,"axG",@progbits,_ZN4vllm10gptq_rdna320gemm_q4_kernel_rdna3I14__hip_bfloat16Li8EEEvPKT_PKjS7_S5_PS3_iiiiiPKi,comdat
	.protected	_ZN4vllm10gptq_rdna320gemm_q4_kernel_rdna3I14__hip_bfloat16Li8EEEvPKT_PKjS7_S5_PS3_iiiiiPKi ; -- Begin function _ZN4vllm10gptq_rdna320gemm_q4_kernel_rdna3I14__hip_bfloat16Li8EEEvPKT_PKjS7_S5_PS3_iiiiiPKi
	.globl	_ZN4vllm10gptq_rdna320gemm_q4_kernel_rdna3I14__hip_bfloat16Li8EEEvPKT_PKjS7_S5_PS3_iiiiiPKi
	.p2align	8
	.type	_ZN4vllm10gptq_rdna320gemm_q4_kernel_rdna3I14__hip_bfloat16Li8EEEvPKT_PKjS7_S5_PS3_iiiiiPKi,@function
_ZN4vllm10gptq_rdna320gemm_q4_kernel_rdna3I14__hip_bfloat16Li8EEEvPKT_PKjS7_S5_PS3_iiiiiPKi: ; @_ZN4vllm10gptq_rdna320gemm_q4_kernel_rdna3I14__hip_bfloat16Li8EEEvPKT_PKjS7_S5_PS3_iiiiiPKi
; %bb.0:
	s_clause 0x2
	s_load_b256 s[4:11], s[2:3], 0x18
	s_load_b128 s[16:19], s[2:3], 0x8
	s_load_b32 s20, s[2:3], 0x38
	v_and_b32_e32 v7, 0x3ff, v0
	s_lshl_b32 s15, s15, 8
	s_delay_alu instid0(SALU_CYCLE_1) | instskip(NEXT) | instid1(VALU_DEP_1)
	s_add_i32 s12, s15, 0x100
	v_add_nc_u32_e32 v1, s15, v7
	s_waitcnt lgkmcnt(0)
	s_min_i32 s21, s12, s10
	s_lshl_b32 s12, s14, 3
	s_mov_b32 s14, exec_lo
	v_cmpx_gt_i32_e64 s21, v1
	s_cbranch_execz .LBB7_34
; %bb.1:
	s_clause 0x1
	s_load_b64 s[24:25], s[2:3], 0x40
	s_load_b64 s[2:3], s[2:3], 0x0
	v_ashrrev_i32_e32 v2, 31, v1
	v_mov_b32_e32 v5, 0
	s_delay_alu instid0(VALU_DEP_2) | instskip(SKIP_2) | instid1(VALU_DEP_1)
	v_lshlrev_b64 v[3:4], 2, v[1:2]
	s_waitcnt lgkmcnt(0)
	s_cmp_lg_u64 s[24:25], 0
	v_add_co_u32 v3, vcc_lo, s24, v3
	s_cselect_b32 s22, -1, 0
	s_delay_alu instid0(VALU_DEP_2) | instskip(SKIP_2) | instid1(VALU_DEP_1)
	v_add_co_ci_u32_e32 v4, vcc_lo, s25, v4, vcc_lo
	v_cndmask_b32_e64 v8, 0, 1, s22
	s_cmp_ge_i32 s12, s8
	v_cmp_ne_u32_e32 vcc_lo, 1, v8
	s_cbranch_scc1 .LBB7_5
; %bb.2:
	v_dual_mov_b32 v6, v2 :: v_dual_mov_b32 v5, v1
	s_and_b32 vcc_lo, exec_lo, vcc_lo
	s_cbranch_vccnz .LBB7_4
; %bb.3:
	global_load_b32 v5, v[3:4], off
	s_waitcnt vmcnt(0)
	v_ashrrev_i32_e32 v6, 31, v5
.LBB7_4:
	s_mul_i32 s24, s12, s10
	s_delay_alu instid0(VALU_DEP_1) | instskip(SKIP_1) | instid1(SALU_CYCLE_1)
	v_lshlrev_b64 v[5:6], 1, v[5:6]
	s_ashr_i32 s25, s24, 31
	s_lshl_b64 s[24:25], s[24:25], 1
	s_delay_alu instid0(SALU_CYCLE_1) | instskip(SKIP_1) | instid1(VALU_DEP_1)
	s_add_u32 s23, s2, s24
	s_addc_u32 s24, s3, s25
	v_add_co_u32 v5, vcc_lo, s23, v5
	v_add_co_ci_u32_e32 v6, vcc_lo, s24, v6, vcc_lo
	global_load_u16 v5, v[5:6], off
.LBB7_5:
	v_dual_mov_b32 v6, 0 :: v_dual_lshlrev_b32 v9, 1, v7
	s_or_b32 s23, s12, 1
	s_delay_alu instid0(SALU_CYCLE_1)
	s_cmp_ge_i32 s23, s8
	s_waitcnt vmcnt(0)
	ds_store_b16 v9, v5
	s_cbranch_scc1 .LBB7_9
; %bb.6:
	v_dual_mov_b32 v6, v2 :: v_dual_mov_b32 v5, v1
	s_and_not1_b32 vcc_lo, exec_lo, s22
	s_cbranch_vccnz .LBB7_8
; %bb.7:
	global_load_b32 v5, v[3:4], off
	s_waitcnt vmcnt(0)
	v_ashrrev_i32_e32 v6, 31, v5
.LBB7_8:
	s_mul_i32 s22, s23, s10
	s_delay_alu instid0(VALU_DEP_1) | instskip(SKIP_1) | instid1(SALU_CYCLE_1)
	v_lshlrev_b64 v[5:6], 1, v[5:6]
	s_ashr_i32 s23, s22, 31
	s_lshl_b64 s[22:23], s[22:23], 1
	s_delay_alu instid0(SALU_CYCLE_1) | instskip(SKIP_1) | instid1(VALU_DEP_1)
	s_add_u32 s22, s2, s22
	s_addc_u32 s23, s3, s23
	v_add_co_u32 v5, vcc_lo, s22, v5
	v_add_co_ci_u32_e32 v6, vcc_lo, s23, v6, vcc_lo
	global_load_u16 v6, v[5:6], off
.LBB7_9:
	v_mov_b32_e32 v5, 0
	s_or_b32 s22, s12, 2
	s_waitcnt vmcnt(0)
	ds_store_b16 v9, v6 offset:528
	s_cmp_ge_i32 s22, s8
	s_cbranch_scc1 .LBB7_13
; %bb.10:
	v_cmp_ne_u32_e32 vcc_lo, 1, v8
	v_dual_mov_b32 v6, v2 :: v_dual_mov_b32 v5, v1
	s_cbranch_vccnz .LBB7_12
; %bb.11:
	global_load_b32 v5, v[3:4], off
	s_waitcnt vmcnt(0)
	v_ashrrev_i32_e32 v6, 31, v5
.LBB7_12:
	s_mul_i32 s22, s22, s10
	s_delay_alu instid0(VALU_DEP_1) | instskip(SKIP_1) | instid1(SALU_CYCLE_1)
	v_lshlrev_b64 v[5:6], 1, v[5:6]
	s_ashr_i32 s23, s22, 31
	s_lshl_b64 s[22:23], s[22:23], 1
	s_delay_alu instid0(SALU_CYCLE_1) | instskip(SKIP_1) | instid1(VALU_DEP_1)
	s_add_u32 s22, s2, s22
	s_addc_u32 s23, s3, s23
	v_add_co_u32 v5, vcc_lo, s22, v5
	v_add_co_ci_u32_e32 v6, vcc_lo, s23, v6, vcc_lo
	global_load_u16 v5, v[5:6], off
.LBB7_13:
	v_mov_b32_e32 v6, 0
	s_or_b32 s22, s12, 3
	s_waitcnt vmcnt(0)
	ds_store_b16 v9, v5 offset:1056
	s_cmp_ge_i32 s22, s8
	s_cbranch_scc1 .LBB7_17
; %bb.14:
	v_cmp_ne_u32_e32 vcc_lo, 1, v8
	v_dual_mov_b32 v6, v2 :: v_dual_mov_b32 v5, v1
	s_cbranch_vccnz .LBB7_16
; %bb.15:
	global_load_b32 v5, v[3:4], off
	s_waitcnt vmcnt(0)
	v_ashrrev_i32_e32 v6, 31, v5
.LBB7_16:
	s_mul_i32 s22, s22, s10
	s_delay_alu instid0(VALU_DEP_1) | instskip(SKIP_1) | instid1(SALU_CYCLE_1)
	v_lshlrev_b64 v[5:6], 1, v[5:6]
	s_ashr_i32 s23, s22, 31
	s_lshl_b64 s[22:23], s[22:23], 1
	s_delay_alu instid0(SALU_CYCLE_1) | instskip(SKIP_1) | instid1(VALU_DEP_1)
	s_add_u32 s22, s2, s22
	s_addc_u32 s23, s3, s23
	v_add_co_u32 v5, vcc_lo, s22, v5
	v_add_co_ci_u32_e32 v6, vcc_lo, s23, v6, vcc_lo
	global_load_u16 v6, v[5:6], off
.LBB7_17:
	;; [unrolled: 27-line block ×5, first 2 shown]
	v_mov_b32_e32 v6, 0
	s_or_b32 s22, s12, 7
	s_waitcnt vmcnt(0)
	ds_store_b16 v9, v5 offset:3168
	s_cmp_ge_i32 s22, s8
	s_cbranch_scc1 .LBB7_33
; %bb.30:
	v_cmp_ne_u32_e32 vcc_lo, 1, v8
	s_cbranch_vccnz .LBB7_32
; %bb.31:
	global_load_b32 v1, v[3:4], off
	s_waitcnt vmcnt(0)
	v_ashrrev_i32_e32 v2, 31, v1
.LBB7_32:
	s_mul_i32 s22, s22, s10
	s_delay_alu instid0(VALU_DEP_1) | instskip(SKIP_1) | instid1(SALU_CYCLE_1)
	v_lshlrev_b64 v[1:2], 1, v[1:2]
	s_ashr_i32 s23, s22, 31
	s_lshl_b64 s[22:23], s[22:23], 1
	s_delay_alu instid0(SALU_CYCLE_1) | instskip(SKIP_1) | instid1(VALU_DEP_1)
	s_add_u32 s2, s2, s22
	s_addc_u32 s3, s3, s23
	v_add_co_u32 v1, vcc_lo, s2, v1
	v_add_co_ci_u32_e32 v2, vcc_lo, s3, v2, vcc_lo
	global_load_u16 v6, v[1:2], off
.LBB7_33:
	s_waitcnt vmcnt(0)
	ds_store_b16 v9, v6 offset:3696
.LBB7_34:
	s_or_b32 exec_lo, exec_lo, s14
	v_lshlrev_b32_e32 v1, 2, v7
	s_waitcnt lgkmcnt(0)
	s_barrier
	buffer_gl0_inv
	s_mov_b32 s2, exec_lo
	v_lshl_add_u32 v1, s13, 10, v1
	s_delay_alu instid0(VALU_DEP_1)
	v_cmpx_gt_i32_e64 s9, v1
	s_cbranch_execz .LBB7_335
; %bb.35:
	s_abs_i32 s2, s11
	s_mov_b32 s24, 0
	v_cvt_f32_u32_e32 v2, s2
	s_mov_b32 s25, s24
	s_mov_b32 s26, s24
	;; [unrolled: 1-line block ×3, first 2 shown]
	s_sub_i32 s13, 0, s2
	v_rcp_iflag_f32_e32 v2, v2
	s_abs_i32 s14, s10
	s_xor_b32 s11, s10, s11
	s_delay_alu instid0(SALU_CYCLE_1) | instskip(SKIP_2) | instid1(VALU_DEP_1)
	s_ashr_i32 s11, s11, 31
	s_waitcnt_depctr 0xfff
	v_mul_f32_e32 v2, 0x4f7ffffe, v2
	v_cvt_u32_f32_e32 v2, v2
	s_delay_alu instid0(VALU_DEP_1) | instskip(NEXT) | instid1(VALU_DEP_1)
	v_readfirstlane_b32 s3, v2
	s_mul_i32 s13, s13, s3
	s_delay_alu instid0(SALU_CYCLE_1) | instskip(NEXT) | instid1(SALU_CYCLE_1)
	s_mul_hi_u32 s13, s3, s13
	s_add_i32 s3, s3, s13
	s_delay_alu instid0(SALU_CYCLE_1) | instskip(NEXT) | instid1(SALU_CYCLE_1)
	s_mul_hi_u32 s3, s14, s3
	s_mul_i32 s13, s3, s2
	s_delay_alu instid0(SALU_CYCLE_1)
	s_sub_i32 s13, s14, s13
	s_add_i32 s14, s3, 1
	s_sub_i32 s22, s13, s2
	s_cmp_ge_u32 s13, s2
	s_cselect_b32 s3, s14, s3
	s_cselect_b32 s13, s22, s13
	s_add_i32 s14, s3, 1
	s_cmp_ge_u32 s13, s2
	s_cselect_b32 s2, s14, s3
	s_delay_alu instid0(SALU_CYCLE_1) | instskip(NEXT) | instid1(SALU_CYCLE_1)
	s_xor_b32 s2, s2, s11
	s_sub_i32 s11, s2, s11
	s_delay_alu instid0(SALU_CYCLE_1) | instskip(SKIP_2) | instid1(VALU_DEP_1)
	s_abs_i32 s2, s11
	s_cmp_ge_i32 s15, s10
	v_cvt_f32_u32_e32 v2, s2
	v_rcp_iflag_f32_e32 v3, v2
	v_ashrrev_i32_e32 v2, 31, v1
	s_delay_alu instid0(VALU_DEP_1) | instskip(SKIP_4) | instid1(VALU_DEP_3)
	v_lshlrev_b64 v[32:33], 1, v[1:2]
	s_waitcnt_depctr 0xfff
	v_dual_mul_f32 v8, 0x4f7ffffe, v3 :: v_dual_mov_b32 v3, s24
	v_dual_mov_b32 v5, s26 :: v_dual_mov_b32 v4, s25
	v_mov_b32_e32 v6, s27
	v_cvt_u32_f32_e32 v8, v8
	s_clause 0x3
	scratch_store_b128 off, v[3:6], off
	scratch_store_b128 off, v[3:6], off offset:16
	scratch_store_b128 off, v[3:6], off offset:32
	;; [unrolled: 1-line block ×3, first 2 shown]
	v_readfirstlane_b32 s3, v8
	s_clause 0x3
	scratch_store_b128 off, v[3:6], off offset:64
	scratch_store_b128 off, v[3:6], off offset:80
	;; [unrolled: 1-line block ×4, first 2 shown]
	s_cbranch_scc1 .LBB7_48
; %bb.36:
	s_sub_i32 s10, 0, s2
	s_abs_i32 s14, s15
	s_mul_i32 s10, s10, s3
	s_ashr_i32 s13, s15, 31
	s_mul_hi_u32 s10, s3, s10
	v_lshrrev_b32_e32 v3, 29, v2
	s_add_i32 s3, s3, s10
	s_ashr_i32 s10, s11, 31
	s_mul_hi_u32 s3, s14, s3
	s_xor_b32 s10, s13, s10
	s_mul_i32 s13, s3, s2
	v_add_nc_u32_e32 v3, v1, v3
	s_sub_i32 s13, s14, s13
	s_add_i32 s14, s3, 1
	s_sub_i32 s22, s13, s2
	s_cmp_ge_u32 s13, s2
	v_ashrrev_i32_e32 v3, 3, v3
	s_cselect_b32 s3, s14, s3
	s_cselect_b32 s13, s22, s13
	s_add_i32 s14, s3, 1
	s_cmp_ge_u32 s13, s2
	v_ashrrev_i32_e32 v4, 31, v3
	s_cselect_b32 s2, s14, s3
	s_ashr_i32 s3, s9, 31
	s_xor_b32 s2, s2, s10
	s_lshr_b32 s13, s3, 29
	s_sub_i32 s10, s2, s10
	s_add_i32 s13, s9, s13
	v_lshlrev_b64 v[3:4], 2, v[3:4]
	s_ashr_i32 s13, s13, 3
	s_mul_i32 s24, s10, s9
	s_mul_i32 s22, s10, s13
	s_load_b64 s[0:1], s[0:1], 0x4
	s_ashr_i32 s23, s22, 31
	v_bfe_u32 v10, v0, 10, 10
	s_lshl_b64 s[22:23], s[22:23], 2
	v_bfe_u32 v11, v0, 20, 10
	s_add_u32 s2, s18, s22
	s_addc_u32 s14, s19, s23
	v_add_co_u32 v5, vcc_lo, s2, v3
	v_add_co_ci_u32_e32 v6, vcc_lo, s14, v4, vcc_lo
	s_ashr_i32 s25, s24, 31
	v_lshlrev_b64 v[0:1], 2, v[1:2]
	s_lshl_b64 s[22:23], s[24:25], 1
	global_load_b32 v8, v[5:6], off
	s_add_u32 s2, s4, s22
	s_addc_u32 s14, s5, s23
	v_add_co_u32 v5, vcc_lo, s2, v32
	v_add_co_ci_u32_e32 v6, vcc_lo, s14, v33, vcc_lo
	v_add_co_u32 v38, vcc_lo, s4, v32
	s_ashr_i32 s4, s15, 3
	global_load_b64 v[5:6], v[5:6], off
	s_mul_i32 s4, s4, s9
	s_waitcnt lgkmcnt(0)
	s_lshr_b32 s0, s0, 16
	v_add_co_ci_u32_e32 v39, vcc_lo, s5, v33, vcc_lo
	s_ashr_i32 s5, s4, 31
	v_lshlrev_b32_e32 v9, 4, v7
	s_mul_i32 s14, s0, s1
	v_mul_u32_u24_e32 v2, s1, v10
	s_lshl_b64 s[0:1], s[4:5], 2
	v_add_co_u32 v41, vcc_lo, s18, v3
	v_mul_lo_u32 v3, s14, v7
	s_add_u32 s4, s16, s0
	v_add_co_ci_u32_e32 v42, vcc_lo, s19, v4, vcc_lo
	v_add_co_u32 v34, vcc_lo, s4, v0
	s_addc_u32 s1, s17, s1
	s_lshl_b32 s0, s9, 2
	s_delay_alu instid0(VALU_DEP_3) | instskip(SKIP_3) | instid1(VALU_DEP_2)
	v_add3_u32 v2, v3, v2, v11
	v_add_co_ci_u32_e32 v35, vcc_lo, s1, v1, vcc_lo
	s_mov_b32 s2, s9
	s_add_i32 s5, s10, 1
	v_lshl_add_u32 v43, v2, 4, 0x1080
	s_ashr_i32 s1, s0, 31
	s_lshl_b64 s[2:3], s[2:3], 2
	s_mul_i32 s14, s5, s11
	s_mov_b32 s16, 0xf000f
	s_lshl_b64 s[4:5], s[0:1], 2
	s_mov_b32 s17, s15
	v_mov_b32_e32 v44, 0
	s_waitcnt vmcnt(1)
	v_lshrrev_b32_e32 v0, v9, v8
	s_delay_alu instid0(VALU_DEP_1) | instskip(SKIP_2) | instid1(VALU_DEP_3)
	v_bfe_u32 v3, v0, 4, 4
	v_bfe_u32 v4, v0, 8, 4
	;; [unrolled: 1-line block ×3, first 2 shown]
	v_add_nc_u32_e32 v3, s20, v3
	s_waitcnt vmcnt(0)
	v_lshlrev_b32_e32 v45, 16, v5
	s_delay_alu instid0(VALU_DEP_3)
	v_add_nc_u32_e32 v0, s20, v0
	v_and_b32_e32 v46, 0xffff0000, v5
	v_lshlrev_b32_e32 v47, 16, v6
	v_cvt_f32_u32_e32 v3, v3
	v_and_b32_e32 v48, 0xffff0000, v6
	v_cvt_f32_u32_e32 v0, v0
	s_delay_alu instid0(VALU_DEP_1) | instskip(SKIP_1) | instid1(VALU_DEP_2)
	v_dual_add_f32 v3, 0x43000000, v3 :: v_dual_add_f32 v0, 0x43000000, v0
	v_and_b32_e32 v40, 16, v9
	v_mul_f32_e64 v50, v46, -v3
	s_delay_alu instid0(VALU_DEP_3) | instskip(NEXT) | instid1(VALU_DEP_3)
	v_mul_f32_e64 v52, -v0, v48
	v_bfe_u32 v1, v8, v40, 4
	s_delay_alu instid0(VALU_DEP_1) | instskip(NEXT) | instid1(VALU_DEP_1)
	v_add_nc_u32_e32 v1, s20, v1
	v_cvt_f32_u32_e32 v1, v1
	s_delay_alu instid0(VALU_DEP_1) | instskip(NEXT) | instid1(VALU_DEP_1)
	v_dual_add_f32 v1, 0x43000000, v1 :: v_dual_add_nc_u32 v4, s20, v4
	v_cvt_f32_u32_e32 v4, v4
	s_delay_alu instid0(VALU_DEP_2) | instskip(NEXT) | instid1(VALU_DEP_2)
	v_mul_f32_e64 v49, v45, -v1
	v_add_f32_e32 v4, 0x43000000, v4
	s_delay_alu instid0(VALU_DEP_1)
	v_mul_f32_e64 v51, -v4, v47
.LBB7_37:                               ; =>This Loop Header: Depth=1
                                        ;     Child Loop BB7_40 Depth 2
                                        ;     Child Loop BB7_42 Depth 2
	;; [unrolled: 1-line block ×4, first 2 shown]
	s_cmp_lg_u32 s17, s14
	s_cbranch_scc1 .LBB7_39
; %bb.38:                               ;   in Loop: Header=BB7_37 Depth=1
	s_add_i32 s10, s10, 1
	s_add_i32 s14, s14, s11
	s_mul_i32 s0, s10, s13
	s_mul_i32 s18, s10, s9
	s_ashr_i32 s1, s0, 31
	s_ashr_i32 s19, s18, 31
	s_lshl_b64 s[0:1], s[0:1], 2
	s_delay_alu instid0(SALU_CYCLE_1) | instskip(SKIP_2) | instid1(SALU_CYCLE_1)
	v_add_co_u32 v0, vcc_lo, v41, s0
	v_add_co_ci_u32_e32 v1, vcc_lo, s1, v42, vcc_lo
	s_lshl_b64 s[0:1], s[18:19], 1
	v_add_co_u32 v2, vcc_lo, v38, s0
	v_add_co_ci_u32_e32 v3, vcc_lo, s1, v39, vcc_lo
	global_load_b32 v4, v[0:1], off
	global_load_b64 v[0:1], v[2:3], off
	s_waitcnt vmcnt(1)
	v_lshrrev_b32_e32 v2, v40, v4
	v_bfe_u32 v3, v4, v40, 4
	s_waitcnt vmcnt(0)
	v_and_b32_e32 v46, 0xffff0000, v0
	v_lshlrev_b32_e32 v47, 16, v1
	v_and_b32_e32 v48, 0xffff0000, v1
	v_bfe_u32 v4, v2, 4, 4
	v_bfe_u32 v5, v2, 8, 4
	;; [unrolled: 1-line block ×3, first 2 shown]
	s_delay_alu instid0(VALU_DEP_1) | instskip(NEXT) | instid1(VALU_DEP_1)
	v_add_nc_u32_e32 v2, s20, v2
	v_cvt_f32_u32_e32 v2, v2
	v_lshlrev_b32_e32 v45, 16, v0
	v_add_nc_u32_e32 v0, s20, v3
	s_delay_alu instid0(VALU_DEP_3) | instskip(NEXT) | instid1(VALU_DEP_1)
	v_dual_add_f32 v2, 0x43000000, v2 :: v_dual_add_nc_u32 v3, s20, v4
	v_cvt_f32_u32_e32 v3, v3
	v_add_nc_u32_e32 v4, s20, v5
	s_delay_alu instid0(VALU_DEP_3) | instskip(NEXT) | instid1(VALU_DEP_3)
	v_mul_f32_e64 v52, -v2, v48
	v_add_f32_e32 v1, 0x43000000, v3
	s_delay_alu instid0(VALU_DEP_3) | instskip(NEXT) | instid1(VALU_DEP_2)
	v_cvt_f32_u32_e32 v4, v4
	v_mul_f32_e64 v50, v46, -v1
	s_delay_alu instid0(VALU_DEP_2) | instskip(SKIP_1) | instid1(VALU_DEP_1)
	v_add_f32_e32 v3, 0x43000000, v4
	v_cvt_f32_u32_e32 v0, v0
	v_add_f32_e32 v0, 0x43000000, v0
	s_delay_alu instid0(VALU_DEP_3) | instskip(NEXT) | instid1(VALU_DEP_2)
	v_mul_f32_e64 v51, -v3, v47
	v_mul_f32_e64 v49, v45, -v0
.LBB7_39:                               ;   in Loop: Header=BB7_37 Depth=1
	global_load_b128 v[59:62], v[34:35], off
	s_sub_i32 s0, s17, s15
	s_mov_b32 s19, 0
	s_lshl_b32 s18, s0, 1
	s_mov_b32 s22, 0
	v_mov_b32_e32 v28, s18
	ds_load_b128 v[0:3], v28
	ds_load_b128 v[4:7], v28 offset:528
	ds_load_b128 v[8:11], v28 offset:1056
	;; [unrolled: 1-line block ×7, first 2 shown]
	s_waitcnt lgkmcnt(7)
	v_dot2_f32_bf16 v36, v0, 0x3f803f80, 0
	s_waitcnt lgkmcnt(6)
	v_dot2_f32_bf16 v37, v4, 0x3f803f80, 0
	;; [unrolled: 2-line block ×8, first 2 shown]
	v_dot2_f32_bf16 v36, v1, 0x3f803f80, v36
	v_dot2_f32_bf16 v37, v5, 0x3f803f80, v37
	;; [unrolled: 1-line block ×24, first 2 shown]
	s_waitcnt vmcnt(0)
	ds_store_b128 v43, v[59:62]
.LBB7_40:                               ;   Parent Loop BB7_37 Depth=1
                                        ; =>  This Inner Loop Header: Depth=2
	s_cmp_eq_u32 s22, 1
	v_readfirstlane_b32 s23, v44
	s_cselect_b32 vcc_lo, -1, 0
	s_cmp_eq_u32 s22, 2
	v_dual_cndmask_b32 v59, v45, v46 :: v_dual_add_nc_u32 v68, s19, v43
	s_cselect_b32 s0, -1, 0
	s_cmp_eq_u32 s22, 3
	s_cselect_b32 s1, -1, 0
	s_add_i32 s23, s23, s19
	s_add_i32 s24, s19, 0
	;; [unrolled: 1-line block ×8, first 2 shown]
	s_addk_i32 s23, 0x70
	s_clause 0x7
	scratch_load_b32 v60, off, s24
	scratch_load_b32 v61, off, s25
	;; [unrolled: 1-line block ×8, first 2 shown]
	ds_load_b32 v68, v68
	v_cndmask_b32_e64 v59, v59, v47, s0
	s_add_i32 s19, s19, 4
	s_add_i32 s22, s22, 1
	s_cmp_eq_u32 s19, 16
	s_delay_alu instid0(VALU_DEP_1)
	v_cndmask_b32_e64 v59, v59, v48, s1
	s_waitcnt lgkmcnt(0)
	v_lshrrev_b32_e32 v70, 4, v68
	v_lshrrev_b32_e32 v71, 8, v68
	v_lshrrev_b32_e32 v72, 12, v68
	v_and_or_b32 v68, v68, s16, 0x43004300
	s_delay_alu instid0(VALU_DEP_4) | instskip(NEXT) | instid1(VALU_DEP_4)
	v_and_or_b32 v70, v70, s16, 0x43004300
	v_and_or_b32 v71, v71, s16, 0x43004300
	s_delay_alu instid0(VALU_DEP_4) | instskip(NEXT) | instid1(VALU_DEP_4)
	v_and_or_b32 v72, v72, s16, 0x43004300
	v_dot2_f32_bf16 v73, v0, v68, 0
	v_dot2_f32_bf16 v74, v4, v68, 0
	;; [unrolled: 1-line block ×26, first 2 shown]
	v_cndmask_b32_e32 v69, v49, v50, vcc_lo
	v_dot2_f32_bf16 v74, v15, v72, v75
	v_dot2_f32_bf16 v75, v19, v72, v76
	;; [unrolled: 1-line block ×4, first 2 shown]
	v_cndmask_b32_e64 v69, v69, v51, s0
	v_dot2_f32_bf16 v68, v31, v72, v68
	v_dot2_f32_bf16 v70, v3, v72, v70
	s_delay_alu instid0(VALU_DEP_3) | instskip(SKIP_1) | instid1(VALU_DEP_1)
	v_cndmask_b32_e64 v69, v69, v52, s1
	s_waitcnt vmcnt(6)
	v_fmac_f32_e32 v61, v69, v37
	s_delay_alu instid0(VALU_DEP_1) | instskip(SKIP_3) | instid1(VALU_DEP_3)
	v_dual_fmac_f32 v60, v69, v36 :: v_dual_fmac_f32 v61, v59, v71
	s_waitcnt vmcnt(0)
	v_fmac_f32_e32 v67, v69, v58
	v_fmac_f32_e32 v66, v69, v57
	;; [unrolled: 1-line block ×3, first 2 shown]
	s_delay_alu instid0(VALU_DEP_3) | instskip(NEXT) | instid1(VALU_DEP_3)
	v_fmac_f32_e32 v67, v59, v68
	v_dual_fmac_f32 v65, v69, v56 :: v_dual_fmac_f32 v66, v59, v77
	s_delay_alu instid0(VALU_DEP_1) | instskip(NEXT) | instid1(VALU_DEP_1)
	v_dual_fmac_f32 v64, v69, v55 :: v_dual_fmac_f32 v65, v59, v76
	v_dual_fmac_f32 v63, v69, v54 :: v_dual_fmac_f32 v64, v59, v75
	s_delay_alu instid0(VALU_DEP_1) | instskip(NEXT) | instid1(VALU_DEP_1)
	v_dual_fmac_f32 v62, v69, v53 :: v_dual_fmac_f32 v63, v59, v74
	v_fmac_f32_e32 v62, v59, v73
	s_clause 0x7
	scratch_store_b32 off, v60, s24
	scratch_store_b32 off, v61, s25
	;; [unrolled: 1-line block ×8, first 2 shown]
	s_cbranch_scc0 .LBB7_40
; %bb.41:                               ;   in Loop: Header=BB7_37 Depth=1
	v_add_co_u32 v36, vcc_lo, v34, s2
	v_add_co_ci_u32_e32 v37, vcc_lo, s3, v35, vcc_lo
	v_mov_b32_e32 v28, s18
	s_mov_b32 s19, 0
	s_mov_b32 s22, 0
	global_load_b128 v[61:64], v[36:37], off
	ds_load_b128 v[0:3], v28 offset:16
	ds_load_b128 v[4:7], v28 offset:544
	;; [unrolled: 1-line block ×8, first 2 shown]
	s_waitcnt lgkmcnt(7)
	v_dot2_f32_bf16 v53, v0, 0x3f803f80, 0
	s_waitcnt lgkmcnt(6)
	v_dot2_f32_bf16 v54, v4, 0x3f803f80, 0
	;; [unrolled: 2-line block ×8, first 2 shown]
	v_dot2_f32_bf16 v53, v1, 0x3f803f80, v53
	v_dot2_f32_bf16 v54, v5, 0x3f803f80, v54
	;; [unrolled: 1-line block ×24, first 2 shown]
	s_waitcnt vmcnt(0)
	ds_store_b128 v43, v[61:64]
.LBB7_42:                               ;   Parent Loop BB7_37 Depth=1
                                        ; =>  This Inner Loop Header: Depth=2
	s_cmp_eq_u32 s22, 1
	v_readfirstlane_b32 s23, v44
	s_cselect_b32 vcc_lo, -1, 0
	s_cmp_eq_u32 s22, 2
	v_dual_cndmask_b32 v61, v45, v46 :: v_dual_add_nc_u32 v70, s19, v43
	s_cselect_b32 s0, -1, 0
	s_cmp_eq_u32 s22, 3
	v_cndmask_b32_e32 v71, v49, v50, vcc_lo
	s_cselect_b32 s1, -1, 0
	s_add_i32 s23, s23, s19
	s_add_i32 s24, s19, 0
	;; [unrolled: 1-line block ×8, first 2 shown]
	s_addk_i32 s23, 0x70
	s_clause 0x7
	scratch_load_b32 v62, off, s24
	scratch_load_b32 v63, off, s25
	;; [unrolled: 1-line block ×8, first 2 shown]
	ds_load_b32 v70, v70
	v_cndmask_b32_e64 v71, v71, v51, s0
	v_cndmask_b32_e64 v61, v61, v47, s0
	s_add_i32 s19, s19, 4
	s_add_i32 s22, s22, 1
	s_cmp_lg_u32 s19, 16
	v_cndmask_b32_e64 v71, v71, v52, s1
	v_cndmask_b32_e64 v61, v61, v48, s1
	s_waitcnt lgkmcnt(0)
	v_lshrrev_b32_e32 v72, 4, v70
	v_lshrrev_b32_e32 v73, 8, v70
	;; [unrolled: 1-line block ×3, first 2 shown]
	v_and_or_b32 v70, v70, s16, 0x43004300
	s_delay_alu instid0(VALU_DEP_4) | instskip(NEXT) | instid1(VALU_DEP_4)
	v_and_or_b32 v72, v72, s16, 0x43004300
	v_and_or_b32 v73, v73, s16, 0x43004300
	s_delay_alu instid0(VALU_DEP_4) | instskip(NEXT) | instid1(VALU_DEP_4)
	v_and_or_b32 v74, v74, s16, 0x43004300
	v_dot2_f32_bf16 v75, v0, v70, 0
	v_dot2_f32_bf16 v76, v4, v70, 0
	;; [unrolled: 1-line block ×32, first 2 shown]
	s_waitcnt vmcnt(4)
	v_fmac_f32_e32 v65, v71, v56
	v_fmac_f32_e32 v62, v71, v53
	s_waitcnt vmcnt(2)
	v_fmac_f32_e32 v67, v71, v58
	v_fmac_f32_e32 v66, v71, v57
	;; [unrolled: 3-line block ×3, first 2 shown]
	v_dual_fmac_f32 v63, v71, v54 :: v_dual_fmac_f32 v62, v61, v72
	v_fmac_f32_e32 v64, v71, v55
	s_delay_alu instid0(VALU_DEP_4) | instskip(NEXT) | instid1(VALU_DEP_3)
	v_dual_fmac_f32 v68, v71, v59 :: v_dual_fmac_f32 v69, v61, v70
	v_fmac_f32_e32 v63, v61, v73
	v_fmac_f32_e32 v67, v61, v78
	s_delay_alu instid0(VALU_DEP_4)
	v_fmac_f32_e32 v64, v61, v75
	v_fmac_f32_e32 v66, v61, v77
	;; [unrolled: 1-line block ×3, first 2 shown]
	s_clause 0x7
	scratch_store_b32 off, v62, s24
	scratch_store_b32 off, v63, s25
	;; [unrolled: 1-line block ×8, first 2 shown]
	s_cbranch_scc1 .LBB7_42
; %bb.43:                               ;   in Loop: Header=BB7_37 Depth=1
	v_add_co_u32 v36, vcc_lo, v36, s2
	v_add_co_ci_u32_e32 v37, vcc_lo, s3, v37, vcc_lo
	v_mov_b32_e32 v28, s18
	s_mov_b32 s19, 0
	s_mov_b32 s22, 0
	global_load_b128 v[61:64], v[36:37], off
	ds_load_b128 v[0:3], v28 offset:32
	ds_load_b128 v[4:7], v28 offset:560
	;; [unrolled: 1-line block ×8, first 2 shown]
	s_waitcnt lgkmcnt(7)
	v_dot2_f32_bf16 v53, v0, 0x3f803f80, 0
	s_waitcnt lgkmcnt(6)
	v_dot2_f32_bf16 v54, v4, 0x3f803f80, 0
	;; [unrolled: 2-line block ×8, first 2 shown]
	v_dot2_f32_bf16 v53, v1, 0x3f803f80, v53
	v_dot2_f32_bf16 v54, v5, 0x3f803f80, v54
	;; [unrolled: 1-line block ×24, first 2 shown]
	s_waitcnt vmcnt(0)
	ds_store_b128 v43, v[61:64]
.LBB7_44:                               ;   Parent Loop BB7_37 Depth=1
                                        ; =>  This Inner Loop Header: Depth=2
	s_cmp_eq_u32 s22, 1
	v_readfirstlane_b32 s23, v44
	s_cselect_b32 vcc_lo, -1, 0
	s_cmp_eq_u32 s22, 2
	v_dual_cndmask_b32 v61, v45, v46 :: v_dual_add_nc_u32 v70, s19, v43
	s_cselect_b32 s0, -1, 0
	s_cmp_eq_u32 s22, 3
	v_cndmask_b32_e32 v71, v49, v50, vcc_lo
	s_cselect_b32 s1, -1, 0
	s_add_i32 s23, s23, s19
	s_add_i32 s24, s19, 0
	;; [unrolled: 1-line block ×8, first 2 shown]
	s_addk_i32 s23, 0x70
	s_clause 0x7
	scratch_load_b32 v62, off, s24
	scratch_load_b32 v63, off, s25
	;; [unrolled: 1-line block ×8, first 2 shown]
	ds_load_b32 v70, v70
	v_cndmask_b32_e64 v71, v71, v51, s0
	v_cndmask_b32_e64 v61, v61, v47, s0
	s_add_i32 s19, s19, 4
	s_add_i32 s22, s22, 1
	s_cmp_lg_u32 s19, 16
	v_cndmask_b32_e64 v71, v71, v52, s1
	v_cndmask_b32_e64 v61, v61, v48, s1
	s_waitcnt lgkmcnt(0)
	v_lshrrev_b32_e32 v72, 4, v70
	v_lshrrev_b32_e32 v73, 8, v70
	;; [unrolled: 1-line block ×3, first 2 shown]
	v_and_or_b32 v70, v70, s16, 0x43004300
	s_delay_alu instid0(VALU_DEP_4) | instskip(NEXT) | instid1(VALU_DEP_4)
	v_and_or_b32 v72, v72, s16, 0x43004300
	v_and_or_b32 v73, v73, s16, 0x43004300
	s_delay_alu instid0(VALU_DEP_4) | instskip(NEXT) | instid1(VALU_DEP_4)
	v_and_or_b32 v74, v74, s16, 0x43004300
	v_dot2_f32_bf16 v75, v0, v70, 0
	v_dot2_f32_bf16 v76, v4, v70, 0
	;; [unrolled: 1-line block ×32, first 2 shown]
	s_waitcnt vmcnt(4)
	v_fmac_f32_e32 v65, v71, v56
	v_fmac_f32_e32 v62, v71, v53
	s_waitcnt vmcnt(2)
	v_fmac_f32_e32 v67, v71, v58
	v_fmac_f32_e32 v66, v71, v57
	;; [unrolled: 3-line block ×3, first 2 shown]
	v_dual_fmac_f32 v63, v71, v54 :: v_dual_fmac_f32 v62, v61, v72
	v_fmac_f32_e32 v64, v71, v55
	s_delay_alu instid0(VALU_DEP_4) | instskip(NEXT) | instid1(VALU_DEP_3)
	v_dual_fmac_f32 v68, v71, v59 :: v_dual_fmac_f32 v69, v61, v70
	v_fmac_f32_e32 v63, v61, v73
	v_fmac_f32_e32 v67, v61, v78
	s_delay_alu instid0(VALU_DEP_4)
	v_fmac_f32_e32 v64, v61, v75
	v_fmac_f32_e32 v66, v61, v77
	v_fmac_f32_e32 v68, v61, v79
	s_clause 0x7
	scratch_store_b32 off, v62, s24
	scratch_store_b32 off, v63, s25
	;; [unrolled: 1-line block ×8, first 2 shown]
	s_cbranch_scc1 .LBB7_44
; %bb.45:                               ;   in Loop: Header=BB7_37 Depth=1
	v_add_co_u32 v0, vcc_lo, v36, s2
	v_add_co_ci_u32_e32 v1, vcc_lo, s3, v37, vcc_lo
	v_mov_b32_e32 v28, s18
	s_mov_b32 s18, 0
	s_mov_b32 s19, 0
	global_load_b128 v[59:62], v[0:1], off
	ds_load_b128 v[0:3], v28 offset:48
	ds_load_b128 v[4:7], v28 offset:576
	;; [unrolled: 1-line block ×8, first 2 shown]
	s_waitcnt lgkmcnt(7)
	v_dot2_f32_bf16 v36, v0, 0x3f803f80, 0
	s_waitcnt lgkmcnt(6)
	v_dot2_f32_bf16 v37, v4, 0x3f803f80, 0
	;; [unrolled: 2-line block ×8, first 2 shown]
	v_dot2_f32_bf16 v36, v1, 0x3f803f80, v36
	v_dot2_f32_bf16 v37, v5, 0x3f803f80, v37
	;; [unrolled: 1-line block ×24, first 2 shown]
	s_waitcnt vmcnt(0)
	ds_store_b128 v43, v[59:62]
.LBB7_46:                               ;   Parent Loop BB7_37 Depth=1
                                        ; =>  This Inner Loop Header: Depth=2
	s_cmp_eq_u32 s19, 1
	v_readfirstlane_b32 s22, v44
	s_cselect_b32 vcc_lo, -1, 0
	s_cmp_eq_u32 s19, 2
	v_dual_cndmask_b32 v59, v45, v46 :: v_dual_add_nc_u32 v68, s18, v43
	s_cselect_b32 s0, -1, 0
	s_cmp_eq_u32 s19, 3
	s_cselect_b32 s1, -1, 0
	s_add_i32 s22, s22, s18
	s_add_i32 s23, s18, 0
	;; [unrolled: 1-line block ×8, first 2 shown]
	s_addk_i32 s22, 0x70
	s_clause 0x7
	scratch_load_b32 v60, off, s23
	scratch_load_b32 v61, off, s24
	;; [unrolled: 1-line block ×8, first 2 shown]
	ds_load_b32 v68, v68
	v_cndmask_b32_e64 v59, v59, v47, s0
	s_add_i32 s18, s18, 4
	s_add_i32 s19, s19, 1
	s_cmp_lg_u32 s18, 16
	s_delay_alu instid0(VALU_DEP_1)
	v_cndmask_b32_e64 v59, v59, v48, s1
	s_waitcnt lgkmcnt(0)
	v_lshrrev_b32_e32 v70, 4, v68
	v_lshrrev_b32_e32 v71, 8, v68
	;; [unrolled: 1-line block ×3, first 2 shown]
	v_and_or_b32 v68, v68, s16, 0x43004300
	s_delay_alu instid0(VALU_DEP_4) | instskip(NEXT) | instid1(VALU_DEP_4)
	v_and_or_b32 v70, v70, s16, 0x43004300
	v_and_or_b32 v71, v71, s16, 0x43004300
	s_delay_alu instid0(VALU_DEP_4) | instskip(NEXT) | instid1(VALU_DEP_4)
	v_and_or_b32 v72, v72, s16, 0x43004300
	v_dot2_f32_bf16 v73, v0, v68, 0
	v_dot2_f32_bf16 v74, v4, v68, 0
	;; [unrolled: 1-line block ×26, first 2 shown]
	v_cndmask_b32_e32 v69, v49, v50, vcc_lo
	v_dot2_f32_bf16 v74, v15, v72, v75
	v_dot2_f32_bf16 v75, v19, v72, v76
	;; [unrolled: 1-line block ×4, first 2 shown]
	v_cndmask_b32_e64 v69, v69, v51, s0
	v_dot2_f32_bf16 v68, v31, v72, v68
	v_dot2_f32_bf16 v70, v3, v72, v70
	s_delay_alu instid0(VALU_DEP_3) | instskip(SKIP_1) | instid1(VALU_DEP_1)
	v_cndmask_b32_e64 v69, v69, v52, s1
	s_waitcnt vmcnt(6)
	v_fmac_f32_e32 v61, v69, v37
	s_delay_alu instid0(VALU_DEP_1) | instskip(SKIP_3) | instid1(VALU_DEP_3)
	v_dual_fmac_f32 v60, v69, v36 :: v_dual_fmac_f32 v61, v59, v71
	s_waitcnt vmcnt(0)
	v_fmac_f32_e32 v67, v69, v58
	v_fmac_f32_e32 v66, v69, v57
	v_fmac_f32_e32 v60, v59, v70
	s_delay_alu instid0(VALU_DEP_3) | instskip(NEXT) | instid1(VALU_DEP_3)
	v_fmac_f32_e32 v67, v59, v68
	v_dual_fmac_f32 v65, v69, v56 :: v_dual_fmac_f32 v66, v59, v77
	s_delay_alu instid0(VALU_DEP_1) | instskip(NEXT) | instid1(VALU_DEP_1)
	v_dual_fmac_f32 v64, v69, v55 :: v_dual_fmac_f32 v65, v59, v76
	v_dual_fmac_f32 v63, v69, v54 :: v_dual_fmac_f32 v64, v59, v75
	s_delay_alu instid0(VALU_DEP_1) | instskip(NEXT) | instid1(VALU_DEP_1)
	v_dual_fmac_f32 v62, v69, v53 :: v_dual_fmac_f32 v63, v59, v74
	v_fmac_f32_e32 v62, v59, v73
	s_clause 0x7
	scratch_store_b32 off, v60, s23
	scratch_store_b32 off, v61, s24
	;; [unrolled: 1-line block ×8, first 2 shown]
	s_cbranch_scc1 .LBB7_46
; %bb.47:                               ;   in Loop: Header=BB7_37 Depth=1
	v_add_co_u32 v34, vcc_lo, v34, s4
	v_add_co_ci_u32_e32 v35, vcc_lo, s5, v35, vcc_lo
	s_add_i32 s17, s17, 32
	s_delay_alu instid0(SALU_CYCLE_1)
	s_cmp_ge_i32 s17, s21
	s_cbranch_scc0 .LBB7_37
.LBB7_48:
	v_add_co_u32 v6, vcc_lo, s6, v32
	v_add_co_ci_u32_e32 v7, vcc_lo, s7, v33, vcc_lo
	s_cmp_lt_i32 s12, s8
	s_cbranch_scc1 .LBB7_56
; %bb.49:
	s_or_b32 s0, s12, 1
	s_delay_alu instid0(SALU_CYCLE_1)
	s_cmp_ge_i32 s0, s8
	s_cbranch_scc0 .LBB7_91
.LBB7_50:
	s_or_b32 s0, s12, 2
	s_delay_alu instid0(SALU_CYCLE_1)
	s_cmp_ge_i32 s0, s8
	s_cbranch_scc0 .LBB7_126
.LBB7_51:
	s_or_b32 s0, s12, 3
	s_delay_alu instid0(SALU_CYCLE_1)
	s_cmp_ge_i32 s0, s8
	s_cbranch_scc0 .LBB7_161
.LBB7_52:
	s_or_b32 s0, s12, 4
	s_delay_alu instid0(SALU_CYCLE_1)
	s_cmp_ge_i32 s0, s8
	s_cbranch_scc0 .LBB7_196
.LBB7_53:
	s_or_b32 s0, s12, 5
	s_delay_alu instid0(SALU_CYCLE_1)
	s_cmp_ge_i32 s0, s8
	s_cbranch_scc0 .LBB7_231
.LBB7_54:
	s_or_b32 s0, s12, 6
	s_delay_alu instid0(SALU_CYCLE_1)
	s_cmp_ge_i32 s0, s8
	s_cbranch_scc0 .LBB7_266
.LBB7_55:
	s_or_b32 s0, s12, 7
	s_delay_alu instid0(SALU_CYCLE_1)
	s_cmp_ge_i32 s0, s8
	s_cbranch_scc0 .LBB7_301
	s_branch .LBB7_335
.LBB7_56:
	scratch_load_b32 v1, off, off
	s_waitcnt vmcnt(0)
	v_and_b32_e32 v0, 0x7f800000, v1
	s_delay_alu instid0(VALU_DEP_1) | instskip(SKIP_1) | instid1(SALU_CYCLE_1)
	v_cmp_ne_u32_e32 vcc_lo, 0x7f800000, v0
                                        ; implicit-def: $vgpr0
	s_and_saveexec_b32 s0, vcc_lo
	s_xor_b32 s0, exec_lo, s0
; %bb.57:
	v_bfe_u32 v0, v1, 16, 1
	s_delay_alu instid0(VALU_DEP_1)
	v_add3_u32 v0, v1, v0, 0x7fff
                                        ; implicit-def: $vgpr1
; %bb.58:
	s_and_not1_saveexec_b32 s0, s0
; %bb.59:
	v_and_b32_e32 v0, 0xffff, v1
	v_or_b32_e32 v2, 0x10000, v1
	s_delay_alu instid0(VALU_DEP_2) | instskip(NEXT) | instid1(VALU_DEP_2)
	v_cmp_eq_u32_e32 vcc_lo, 0, v0
	v_cndmask_b32_e32 v0, v2, v1, vcc_lo
; %bb.60:
	s_or_b32 exec_lo, exec_lo, s0
	scratch_load_b32 v2, off, off offset:4
	s_waitcnt vmcnt(0)
	v_and_b32_e32 v1, 0x7f800000, v2
	s_delay_alu instid0(VALU_DEP_1) | instskip(SKIP_1) | instid1(SALU_CYCLE_1)
	v_cmp_ne_u32_e32 vcc_lo, 0x7f800000, v1
                                        ; implicit-def: $vgpr1
	s_and_saveexec_b32 s0, vcc_lo
	s_xor_b32 s0, exec_lo, s0
; %bb.61:
	v_bfe_u32 v1, v2, 16, 1
	s_delay_alu instid0(VALU_DEP_1)
	v_add3_u32 v1, v2, v1, 0x7fff
                                        ; implicit-def: $vgpr2
; %bb.62:
	s_and_not1_saveexec_b32 s0, s0
; %bb.63:
	v_and_b32_e32 v1, 0xffff, v2
	v_or_b32_e32 v3, 0x10000, v2
	s_delay_alu instid0(VALU_DEP_2) | instskip(NEXT) | instid1(VALU_DEP_2)
	v_cmp_eq_u32_e32 vcc_lo, 0, v1
	v_cndmask_b32_e32 v1, v3, v2, vcc_lo
; %bb.64:
	s_or_b32 exec_lo, exec_lo, s0
	scratch_load_b32 v2, off, off offset:8
	s_mov_b32 s0, exec_lo
                                        ; implicit-def: $vgpr8
	s_waitcnt vmcnt(0)
	v_and_b32_e32 v3, 0x7f800000, v2
	s_delay_alu instid0(VALU_DEP_1)
	v_cmpx_ne_u32_e32 0x7f800000, v3
	s_xor_b32 s0, exec_lo, s0
; %bb.65:
	v_bfe_u32 v3, v2, 16, 1
	s_delay_alu instid0(VALU_DEP_1)
	v_add3_u32 v8, v2, v3, 0x7fff
                                        ; implicit-def: $vgpr2
; %bb.66:
	s_and_not1_saveexec_b32 s0, s0
; %bb.67:
	v_and_b32_e32 v3, 0xffff, v2
	v_or_b32_e32 v4, 0x10000, v2
	s_delay_alu instid0(VALU_DEP_2) | instskip(NEXT) | instid1(VALU_DEP_2)
	v_cmp_eq_u32_e32 vcc_lo, 0, v3
	v_cndmask_b32_e32 v8, v4, v2, vcc_lo
; %bb.68:
	s_or_b32 exec_lo, exec_lo, s0
	scratch_load_b32 v2, off, off offset:12
	s_mov_b32 s0, exec_lo
                                        ; implicit-def: $vgpr11
	s_waitcnt vmcnt(0)
	v_and_b32_e32 v3, 0x7f800000, v2
	s_delay_alu instid0(VALU_DEP_1)
	v_cmpx_ne_u32_e32 0x7f800000, v3
	s_xor_b32 s0, exec_lo, s0
; %bb.69:
	v_bfe_u32 v3, v2, 16, 1
	s_delay_alu instid0(VALU_DEP_1)
	v_add3_u32 v11, v2, v3, 0x7fff
                                        ; implicit-def: $vgpr2
; %bb.70:
	s_and_not1_saveexec_b32 s0, s0
; %bb.71:
	v_and_b32_e32 v3, 0xffff, v2
	v_or_b32_e32 v4, 0x10000, v2
	s_delay_alu instid0(VALU_DEP_2) | instskip(NEXT) | instid1(VALU_DEP_2)
	v_cmp_eq_u32_e32 vcc_lo, 0, v3
	v_cndmask_b32_e32 v11, v4, v2, vcc_lo
; %bb.72:
	s_or_b32 exec_lo, exec_lo, s0
	s_mul_i32 s0, s12, s9
	v_and_b32_e32 v8, 0xffff0000, v8
	s_ashr_i32 s1, s0, 31
	v_and_b32_e32 v9, 0xffff0000, v1
	s_lshl_b64 s[0:1], s[0:1], 1
	v_and_b32_e32 v10, 0xffff0000, v0
	v_add_co_u32 v4, vcc_lo, v6, s0
	v_add_co_ci_u32_e32 v5, vcc_lo, s1, v7, vcc_lo
	v_and_b32_e32 v11, 0xffff0000, v11
	s_mov_b32 s0, 0
	global_load_b64 v[2:3], v[4:5], off
	s_branch .LBB7_74
.LBB7_73:                               ;   in Loop: Header=BB7_74 Depth=1
	s_or_b32 exec_lo, exec_lo, s1
	v_lshrrev_b32_e32 v1, 16, v1
	s_delay_alu instid0(VALU_DEP_2) | instskip(SKIP_1) | instid1(VALU_DEP_2)
	v_and_b32_e32 v13, 0xffff0000, v14
	v_lshrrev_b32_e32 v0, 16, v0
	v_or_b32_e32 v1, v13, v1
	s_delay_alu instid0(VALU_DEP_2)
	v_and_or_b32 v0, 0xffff0000, v12, v0
	global_atomic_cmpswap_b64 v[0:1], v[4:5], v[0:3], off glc
	s_waitcnt vmcnt(0)
	v_cmp_eq_u64_e32 vcc_lo, v[0:1], v[2:3]
	v_dual_mov_b32 v3, v1 :: v_dual_mov_b32 v2, v0
	s_or_b32 s0, vcc_lo, s0
	s_delay_alu instid0(SALU_CYCLE_1)
	s_and_not1_b32 exec_lo, exec_lo, s0
	s_cbranch_execz .LBB7_90
.LBB7_74:                               ; =>This Inner Loop Header: Depth=1
	s_waitcnt vmcnt(0)
	v_lshlrev_b32_e32 v0, 16, v2
	s_delay_alu instid0(VALU_DEP_1) | instskip(NEXT) | instid1(VALU_DEP_1)
	v_add_f32_e32 v1, v10, v0
	v_and_b32_e32 v0, 0x7f800000, v1
	s_delay_alu instid0(VALU_DEP_1) | instskip(SKIP_1) | instid1(SALU_CYCLE_1)
	v_cmp_ne_u32_e32 vcc_lo, 0x7f800000, v0
                                        ; implicit-def: $vgpr0
	s_and_saveexec_b32 s1, vcc_lo
	s_xor_b32 s1, exec_lo, s1
; %bb.75:                               ;   in Loop: Header=BB7_74 Depth=1
	v_bfe_u32 v0, v1, 16, 1
	s_delay_alu instid0(VALU_DEP_1)
	v_add3_u32 v0, v1, v0, 0x7fff
                                        ; implicit-def: $vgpr1
; %bb.76:                               ;   in Loop: Header=BB7_74 Depth=1
	s_and_not1_saveexec_b32 s1, s1
; %bb.77:                               ;   in Loop: Header=BB7_74 Depth=1
	v_and_b32_e32 v0, 0xffff, v1
	v_or_b32_e32 v12, 0x10000, v1
	s_delay_alu instid0(VALU_DEP_2) | instskip(NEXT) | instid1(VALU_DEP_2)
	v_cmp_eq_u32_e32 vcc_lo, 0, v0
	v_cndmask_b32_e32 v0, v12, v1, vcc_lo
; %bb.78:                               ;   in Loop: Header=BB7_74 Depth=1
	s_or_b32 exec_lo, exec_lo, s1
	v_and_b32_e32 v1, 0xffff0000, v2
	s_delay_alu instid0(VALU_DEP_1) | instskip(NEXT) | instid1(VALU_DEP_1)
	v_add_f32_e32 v1, v9, v1
	v_and_b32_e32 v12, 0x7f800000, v1
	s_delay_alu instid0(VALU_DEP_1) | instskip(SKIP_1) | instid1(SALU_CYCLE_1)
	v_cmp_ne_u32_e32 vcc_lo, 0x7f800000, v12
                                        ; implicit-def: $vgpr12
	s_and_saveexec_b32 s1, vcc_lo
	s_xor_b32 s1, exec_lo, s1
; %bb.79:                               ;   in Loop: Header=BB7_74 Depth=1
	v_bfe_u32 v12, v1, 16, 1
	s_delay_alu instid0(VALU_DEP_1)
	v_add3_u32 v12, v1, v12, 0x7fff
                                        ; implicit-def: $vgpr1
; %bb.80:                               ;   in Loop: Header=BB7_74 Depth=1
	s_and_not1_saveexec_b32 s1, s1
; %bb.81:                               ;   in Loop: Header=BB7_74 Depth=1
	v_and_b32_e32 v12, 0xffff, v1
	v_or_b32_e32 v13, 0x10000, v1
	s_delay_alu instid0(VALU_DEP_2) | instskip(NEXT) | instid1(VALU_DEP_2)
	v_cmp_eq_u32_e32 vcc_lo, 0, v12
	v_cndmask_b32_e32 v12, v13, v1, vcc_lo
; %bb.82:                               ;   in Loop: Header=BB7_74 Depth=1
	s_or_b32 exec_lo, exec_lo, s1
	v_alignbit_b32 v1, v3, v2, 16
	s_delay_alu instid0(VALU_DEP_1) | instskip(NEXT) | instid1(VALU_DEP_1)
	v_and_b32_e32 v1, 0xffff0000, v1
	v_add_f32_e32 v13, v8, v1
	s_delay_alu instid0(VALU_DEP_1) | instskip(NEXT) | instid1(VALU_DEP_1)
	v_and_b32_e32 v1, 0x7f800000, v13
	v_cmp_ne_u32_e32 vcc_lo, 0x7f800000, v1
                                        ; implicit-def: $vgpr1
	s_and_saveexec_b32 s1, vcc_lo
	s_delay_alu instid0(SALU_CYCLE_1)
	s_xor_b32 s1, exec_lo, s1
; %bb.83:                               ;   in Loop: Header=BB7_74 Depth=1
	v_bfe_u32 v1, v13, 16, 1
	s_delay_alu instid0(VALU_DEP_1)
	v_add3_u32 v1, v13, v1, 0x7fff
                                        ; implicit-def: $vgpr13
; %bb.84:                               ;   in Loop: Header=BB7_74 Depth=1
	s_and_not1_saveexec_b32 s1, s1
; %bb.85:                               ;   in Loop: Header=BB7_74 Depth=1
	v_and_b32_e32 v1, 0xffff, v13
	v_or_b32_e32 v14, 0x10000, v13
	s_delay_alu instid0(VALU_DEP_2) | instskip(NEXT) | instid1(VALU_DEP_2)
	v_cmp_eq_u32_e32 vcc_lo, 0, v1
	v_cndmask_b32_e32 v1, v14, v13, vcc_lo
; %bb.86:                               ;   in Loop: Header=BB7_74 Depth=1
	s_or_b32 exec_lo, exec_lo, s1
	v_and_b32_e32 v13, 0xffff0000, v3
	s_delay_alu instid0(VALU_DEP_1) | instskip(NEXT) | instid1(VALU_DEP_1)
	v_add_f32_e32 v13, v11, v13
	v_and_b32_e32 v14, 0x7f800000, v13
	s_delay_alu instid0(VALU_DEP_1) | instskip(SKIP_1) | instid1(SALU_CYCLE_1)
	v_cmp_ne_u32_e32 vcc_lo, 0x7f800000, v14
                                        ; implicit-def: $vgpr14
	s_and_saveexec_b32 s1, vcc_lo
	s_xor_b32 s1, exec_lo, s1
; %bb.87:                               ;   in Loop: Header=BB7_74 Depth=1
	v_bfe_u32 v14, v13, 16, 1
	s_delay_alu instid0(VALU_DEP_1)
	v_add3_u32 v14, v13, v14, 0x7fff
                                        ; implicit-def: $vgpr13
; %bb.88:                               ;   in Loop: Header=BB7_74 Depth=1
	s_and_not1_saveexec_b32 s1, s1
	s_cbranch_execz .LBB7_73
; %bb.89:                               ;   in Loop: Header=BB7_74 Depth=1
	v_and_b32_e32 v14, 0xffff, v13
	v_or_b32_e32 v15, 0x10000, v13
	s_delay_alu instid0(VALU_DEP_2) | instskip(NEXT) | instid1(VALU_DEP_2)
	v_cmp_eq_u32_e32 vcc_lo, 0, v14
	v_cndmask_b32_e32 v14, v15, v13, vcc_lo
	s_branch .LBB7_73
.LBB7_90:
	s_or_b32 exec_lo, exec_lo, s0
	s_or_b32 s0, s12, 1
	s_delay_alu instid0(SALU_CYCLE_1)
	s_cmp_ge_i32 s0, s8
	s_cbranch_scc1 .LBB7_50
.LBB7_91:
	scratch_load_b32 v1, off, off offset:16
	s_waitcnt vmcnt(0)
	v_and_b32_e32 v0, 0x7f800000, v1
	s_delay_alu instid0(VALU_DEP_1) | instskip(SKIP_1) | instid1(SALU_CYCLE_1)
	v_cmp_ne_u32_e32 vcc_lo, 0x7f800000, v0
                                        ; implicit-def: $vgpr0
	s_and_saveexec_b32 s1, vcc_lo
	s_xor_b32 s1, exec_lo, s1
; %bb.92:
	v_bfe_u32 v0, v1, 16, 1
	s_delay_alu instid0(VALU_DEP_1)
	v_add3_u32 v0, v1, v0, 0x7fff
                                        ; implicit-def: $vgpr1
; %bb.93:
	s_and_not1_saveexec_b32 s1, s1
; %bb.94:
	v_and_b32_e32 v0, 0xffff, v1
	v_or_b32_e32 v2, 0x10000, v1
	s_delay_alu instid0(VALU_DEP_2) | instskip(NEXT) | instid1(VALU_DEP_2)
	v_cmp_eq_u32_e32 vcc_lo, 0, v0
	v_cndmask_b32_e32 v0, v2, v1, vcc_lo
; %bb.95:
	s_or_b32 exec_lo, exec_lo, s1
	scratch_load_b32 v2, off, off offset:20
	s_waitcnt vmcnt(0)
	v_and_b32_e32 v1, 0x7f800000, v2
	s_delay_alu instid0(VALU_DEP_1) | instskip(SKIP_1) | instid1(SALU_CYCLE_1)
	v_cmp_ne_u32_e32 vcc_lo, 0x7f800000, v1
                                        ; implicit-def: $vgpr1
	s_and_saveexec_b32 s1, vcc_lo
	s_xor_b32 s1, exec_lo, s1
; %bb.96:
	v_bfe_u32 v1, v2, 16, 1
	s_delay_alu instid0(VALU_DEP_1)
	v_add3_u32 v1, v2, v1, 0x7fff
                                        ; implicit-def: $vgpr2
; %bb.97:
	s_and_not1_saveexec_b32 s1, s1
; %bb.98:
	v_and_b32_e32 v1, 0xffff, v2
	v_or_b32_e32 v3, 0x10000, v2
	s_delay_alu instid0(VALU_DEP_2) | instskip(NEXT) | instid1(VALU_DEP_2)
	v_cmp_eq_u32_e32 vcc_lo, 0, v1
	v_cndmask_b32_e32 v1, v3, v2, vcc_lo
; %bb.99:
	s_or_b32 exec_lo, exec_lo, s1
	scratch_load_b32 v2, off, off offset:24
	s_mov_b32 s1, exec_lo
                                        ; implicit-def: $vgpr8
	s_waitcnt vmcnt(0)
	v_and_b32_e32 v3, 0x7f800000, v2
	s_delay_alu instid0(VALU_DEP_1)
	v_cmpx_ne_u32_e32 0x7f800000, v3
	s_xor_b32 s1, exec_lo, s1
; %bb.100:
	v_bfe_u32 v3, v2, 16, 1
	s_delay_alu instid0(VALU_DEP_1)
	v_add3_u32 v8, v2, v3, 0x7fff
                                        ; implicit-def: $vgpr2
; %bb.101:
	s_and_not1_saveexec_b32 s1, s1
; %bb.102:
	v_and_b32_e32 v3, 0xffff, v2
	v_or_b32_e32 v4, 0x10000, v2
	s_delay_alu instid0(VALU_DEP_2) | instskip(NEXT) | instid1(VALU_DEP_2)
	v_cmp_eq_u32_e32 vcc_lo, 0, v3
	v_cndmask_b32_e32 v8, v4, v2, vcc_lo
; %bb.103:
	s_or_b32 exec_lo, exec_lo, s1
	scratch_load_b32 v2, off, off offset:28
	s_mov_b32 s1, exec_lo
                                        ; implicit-def: $vgpr11
	s_waitcnt vmcnt(0)
	v_and_b32_e32 v3, 0x7f800000, v2
	s_delay_alu instid0(VALU_DEP_1)
	v_cmpx_ne_u32_e32 0x7f800000, v3
	s_xor_b32 s1, exec_lo, s1
; %bb.104:
	v_bfe_u32 v3, v2, 16, 1
	s_delay_alu instid0(VALU_DEP_1)
	v_add3_u32 v11, v2, v3, 0x7fff
                                        ; implicit-def: $vgpr2
; %bb.105:
	s_and_not1_saveexec_b32 s1, s1
; %bb.106:
	v_and_b32_e32 v3, 0xffff, v2
	v_or_b32_e32 v4, 0x10000, v2
	s_delay_alu instid0(VALU_DEP_2) | instskip(NEXT) | instid1(VALU_DEP_2)
	v_cmp_eq_u32_e32 vcc_lo, 0, v3
	v_cndmask_b32_e32 v11, v4, v2, vcc_lo
; %bb.107:
	s_or_b32 exec_lo, exec_lo, s1
	s_mul_i32 s0, s0, s9
	v_and_b32_e32 v8, 0xffff0000, v8
	s_ashr_i32 s1, s0, 31
	v_and_b32_e32 v9, 0xffff0000, v1
	s_lshl_b64 s[0:1], s[0:1], 1
	v_and_b32_e32 v10, 0xffff0000, v0
	v_add_co_u32 v4, vcc_lo, v6, s0
	v_add_co_ci_u32_e32 v5, vcc_lo, s1, v7, vcc_lo
	v_and_b32_e32 v11, 0xffff0000, v11
	s_mov_b32 s0, 0
	global_load_b64 v[2:3], v[4:5], off
	s_branch .LBB7_109
.LBB7_108:                              ;   in Loop: Header=BB7_109 Depth=1
	s_or_b32 exec_lo, exec_lo, s1
	v_lshrrev_b32_e32 v1, 16, v1
	s_delay_alu instid0(VALU_DEP_2) | instskip(SKIP_1) | instid1(VALU_DEP_2)
	v_and_b32_e32 v13, 0xffff0000, v14
	v_lshrrev_b32_e32 v0, 16, v0
	v_or_b32_e32 v1, v13, v1
	s_delay_alu instid0(VALU_DEP_2)
	v_and_or_b32 v0, 0xffff0000, v12, v0
	global_atomic_cmpswap_b64 v[0:1], v[4:5], v[0:3], off glc
	s_waitcnt vmcnt(0)
	v_cmp_eq_u64_e32 vcc_lo, v[0:1], v[2:3]
	v_dual_mov_b32 v3, v1 :: v_dual_mov_b32 v2, v0
	s_or_b32 s0, vcc_lo, s0
	s_delay_alu instid0(SALU_CYCLE_1)
	s_and_not1_b32 exec_lo, exec_lo, s0
	s_cbranch_execz .LBB7_125
.LBB7_109:                              ; =>This Inner Loop Header: Depth=1
	s_waitcnt vmcnt(0)
	v_lshlrev_b32_e32 v0, 16, v2
	s_delay_alu instid0(VALU_DEP_1) | instskip(NEXT) | instid1(VALU_DEP_1)
	v_add_f32_e32 v1, v10, v0
	v_and_b32_e32 v0, 0x7f800000, v1
	s_delay_alu instid0(VALU_DEP_1) | instskip(SKIP_1) | instid1(SALU_CYCLE_1)
	v_cmp_ne_u32_e32 vcc_lo, 0x7f800000, v0
                                        ; implicit-def: $vgpr0
	s_and_saveexec_b32 s1, vcc_lo
	s_xor_b32 s1, exec_lo, s1
; %bb.110:                              ;   in Loop: Header=BB7_109 Depth=1
	v_bfe_u32 v0, v1, 16, 1
	s_delay_alu instid0(VALU_DEP_1)
	v_add3_u32 v0, v1, v0, 0x7fff
                                        ; implicit-def: $vgpr1
; %bb.111:                              ;   in Loop: Header=BB7_109 Depth=1
	s_and_not1_saveexec_b32 s1, s1
; %bb.112:                              ;   in Loop: Header=BB7_109 Depth=1
	v_and_b32_e32 v0, 0xffff, v1
	v_or_b32_e32 v12, 0x10000, v1
	s_delay_alu instid0(VALU_DEP_2) | instskip(NEXT) | instid1(VALU_DEP_2)
	v_cmp_eq_u32_e32 vcc_lo, 0, v0
	v_cndmask_b32_e32 v0, v12, v1, vcc_lo
; %bb.113:                              ;   in Loop: Header=BB7_109 Depth=1
	s_or_b32 exec_lo, exec_lo, s1
	v_and_b32_e32 v1, 0xffff0000, v2
	s_delay_alu instid0(VALU_DEP_1) | instskip(NEXT) | instid1(VALU_DEP_1)
	v_add_f32_e32 v1, v9, v1
	v_and_b32_e32 v12, 0x7f800000, v1
	s_delay_alu instid0(VALU_DEP_1) | instskip(SKIP_1) | instid1(SALU_CYCLE_1)
	v_cmp_ne_u32_e32 vcc_lo, 0x7f800000, v12
                                        ; implicit-def: $vgpr12
	s_and_saveexec_b32 s1, vcc_lo
	s_xor_b32 s1, exec_lo, s1
; %bb.114:                              ;   in Loop: Header=BB7_109 Depth=1
	v_bfe_u32 v12, v1, 16, 1
	s_delay_alu instid0(VALU_DEP_1)
	v_add3_u32 v12, v1, v12, 0x7fff
                                        ; implicit-def: $vgpr1
; %bb.115:                              ;   in Loop: Header=BB7_109 Depth=1
	s_and_not1_saveexec_b32 s1, s1
; %bb.116:                              ;   in Loop: Header=BB7_109 Depth=1
	v_and_b32_e32 v12, 0xffff, v1
	v_or_b32_e32 v13, 0x10000, v1
	s_delay_alu instid0(VALU_DEP_2) | instskip(NEXT) | instid1(VALU_DEP_2)
	v_cmp_eq_u32_e32 vcc_lo, 0, v12
	v_cndmask_b32_e32 v12, v13, v1, vcc_lo
; %bb.117:                              ;   in Loop: Header=BB7_109 Depth=1
	s_or_b32 exec_lo, exec_lo, s1
	v_alignbit_b32 v1, v3, v2, 16
	s_delay_alu instid0(VALU_DEP_1) | instskip(NEXT) | instid1(VALU_DEP_1)
	v_and_b32_e32 v1, 0xffff0000, v1
	v_add_f32_e32 v13, v8, v1
	s_delay_alu instid0(VALU_DEP_1) | instskip(NEXT) | instid1(VALU_DEP_1)
	v_and_b32_e32 v1, 0x7f800000, v13
	v_cmp_ne_u32_e32 vcc_lo, 0x7f800000, v1
                                        ; implicit-def: $vgpr1
	s_and_saveexec_b32 s1, vcc_lo
	s_delay_alu instid0(SALU_CYCLE_1)
	s_xor_b32 s1, exec_lo, s1
; %bb.118:                              ;   in Loop: Header=BB7_109 Depth=1
	v_bfe_u32 v1, v13, 16, 1
	s_delay_alu instid0(VALU_DEP_1)
	v_add3_u32 v1, v13, v1, 0x7fff
                                        ; implicit-def: $vgpr13
; %bb.119:                              ;   in Loop: Header=BB7_109 Depth=1
	s_and_not1_saveexec_b32 s1, s1
; %bb.120:                              ;   in Loop: Header=BB7_109 Depth=1
	v_and_b32_e32 v1, 0xffff, v13
	v_or_b32_e32 v14, 0x10000, v13
	s_delay_alu instid0(VALU_DEP_2) | instskip(NEXT) | instid1(VALU_DEP_2)
	v_cmp_eq_u32_e32 vcc_lo, 0, v1
	v_cndmask_b32_e32 v1, v14, v13, vcc_lo
; %bb.121:                              ;   in Loop: Header=BB7_109 Depth=1
	s_or_b32 exec_lo, exec_lo, s1
	v_and_b32_e32 v13, 0xffff0000, v3
	s_delay_alu instid0(VALU_DEP_1) | instskip(NEXT) | instid1(VALU_DEP_1)
	v_add_f32_e32 v13, v11, v13
	v_and_b32_e32 v14, 0x7f800000, v13
	s_delay_alu instid0(VALU_DEP_1) | instskip(SKIP_1) | instid1(SALU_CYCLE_1)
	v_cmp_ne_u32_e32 vcc_lo, 0x7f800000, v14
                                        ; implicit-def: $vgpr14
	s_and_saveexec_b32 s1, vcc_lo
	s_xor_b32 s1, exec_lo, s1
; %bb.122:                              ;   in Loop: Header=BB7_109 Depth=1
	v_bfe_u32 v14, v13, 16, 1
	s_delay_alu instid0(VALU_DEP_1)
	v_add3_u32 v14, v13, v14, 0x7fff
                                        ; implicit-def: $vgpr13
; %bb.123:                              ;   in Loop: Header=BB7_109 Depth=1
	s_and_not1_saveexec_b32 s1, s1
	s_cbranch_execz .LBB7_108
; %bb.124:                              ;   in Loop: Header=BB7_109 Depth=1
	v_and_b32_e32 v14, 0xffff, v13
	v_or_b32_e32 v15, 0x10000, v13
	s_delay_alu instid0(VALU_DEP_2) | instskip(NEXT) | instid1(VALU_DEP_2)
	v_cmp_eq_u32_e32 vcc_lo, 0, v14
	v_cndmask_b32_e32 v14, v15, v13, vcc_lo
	s_branch .LBB7_108
.LBB7_125:
	s_or_b32 exec_lo, exec_lo, s0
	s_or_b32 s0, s12, 2
	s_delay_alu instid0(SALU_CYCLE_1)
	s_cmp_ge_i32 s0, s8
	s_cbranch_scc1 .LBB7_51
.LBB7_126:
	scratch_load_b32 v1, off, off offset:32
	s_waitcnt vmcnt(0)
	v_and_b32_e32 v0, 0x7f800000, v1
	s_delay_alu instid0(VALU_DEP_1) | instskip(SKIP_1) | instid1(SALU_CYCLE_1)
	v_cmp_ne_u32_e32 vcc_lo, 0x7f800000, v0
                                        ; implicit-def: $vgpr0
	s_and_saveexec_b32 s1, vcc_lo
	s_xor_b32 s1, exec_lo, s1
; %bb.127:
	v_bfe_u32 v0, v1, 16, 1
	s_delay_alu instid0(VALU_DEP_1)
	v_add3_u32 v0, v1, v0, 0x7fff
                                        ; implicit-def: $vgpr1
; %bb.128:
	s_and_not1_saveexec_b32 s1, s1
; %bb.129:
	v_and_b32_e32 v0, 0xffff, v1
	v_or_b32_e32 v2, 0x10000, v1
	s_delay_alu instid0(VALU_DEP_2) | instskip(NEXT) | instid1(VALU_DEP_2)
	v_cmp_eq_u32_e32 vcc_lo, 0, v0
	v_cndmask_b32_e32 v0, v2, v1, vcc_lo
; %bb.130:
	s_or_b32 exec_lo, exec_lo, s1
	scratch_load_b32 v2, off, off offset:36
	s_waitcnt vmcnt(0)
	v_and_b32_e32 v1, 0x7f800000, v2
	s_delay_alu instid0(VALU_DEP_1) | instskip(SKIP_1) | instid1(SALU_CYCLE_1)
	v_cmp_ne_u32_e32 vcc_lo, 0x7f800000, v1
                                        ; implicit-def: $vgpr1
	s_and_saveexec_b32 s1, vcc_lo
	s_xor_b32 s1, exec_lo, s1
; %bb.131:
	v_bfe_u32 v1, v2, 16, 1
	s_delay_alu instid0(VALU_DEP_1)
	v_add3_u32 v1, v2, v1, 0x7fff
                                        ; implicit-def: $vgpr2
; %bb.132:
	s_and_not1_saveexec_b32 s1, s1
; %bb.133:
	v_and_b32_e32 v1, 0xffff, v2
	v_or_b32_e32 v3, 0x10000, v2
	s_delay_alu instid0(VALU_DEP_2) | instskip(NEXT) | instid1(VALU_DEP_2)
	v_cmp_eq_u32_e32 vcc_lo, 0, v1
	v_cndmask_b32_e32 v1, v3, v2, vcc_lo
; %bb.134:
	s_or_b32 exec_lo, exec_lo, s1
	scratch_load_b32 v2, off, off offset:40
	s_mov_b32 s1, exec_lo
                                        ; implicit-def: $vgpr8
	s_waitcnt vmcnt(0)
	v_and_b32_e32 v3, 0x7f800000, v2
	s_delay_alu instid0(VALU_DEP_1)
	v_cmpx_ne_u32_e32 0x7f800000, v3
	s_xor_b32 s1, exec_lo, s1
; %bb.135:
	v_bfe_u32 v3, v2, 16, 1
	s_delay_alu instid0(VALU_DEP_1)
	v_add3_u32 v8, v2, v3, 0x7fff
                                        ; implicit-def: $vgpr2
; %bb.136:
	s_and_not1_saveexec_b32 s1, s1
; %bb.137:
	v_and_b32_e32 v3, 0xffff, v2
	v_or_b32_e32 v4, 0x10000, v2
	s_delay_alu instid0(VALU_DEP_2) | instskip(NEXT) | instid1(VALU_DEP_2)
	v_cmp_eq_u32_e32 vcc_lo, 0, v3
	v_cndmask_b32_e32 v8, v4, v2, vcc_lo
; %bb.138:
	s_or_b32 exec_lo, exec_lo, s1
	scratch_load_b32 v2, off, off offset:44
	s_mov_b32 s1, exec_lo
                                        ; implicit-def: $vgpr11
	s_waitcnt vmcnt(0)
	v_and_b32_e32 v3, 0x7f800000, v2
	s_delay_alu instid0(VALU_DEP_1)
	v_cmpx_ne_u32_e32 0x7f800000, v3
	s_xor_b32 s1, exec_lo, s1
; %bb.139:
	v_bfe_u32 v3, v2, 16, 1
	s_delay_alu instid0(VALU_DEP_1)
	v_add3_u32 v11, v2, v3, 0x7fff
                                        ; implicit-def: $vgpr2
; %bb.140:
	s_and_not1_saveexec_b32 s1, s1
; %bb.141:
	v_and_b32_e32 v3, 0xffff, v2
	v_or_b32_e32 v4, 0x10000, v2
	s_delay_alu instid0(VALU_DEP_2) | instskip(NEXT) | instid1(VALU_DEP_2)
	v_cmp_eq_u32_e32 vcc_lo, 0, v3
	v_cndmask_b32_e32 v11, v4, v2, vcc_lo
; %bb.142:
	s_or_b32 exec_lo, exec_lo, s1
	s_mul_i32 s0, s0, s9
	v_and_b32_e32 v8, 0xffff0000, v8
	s_ashr_i32 s1, s0, 31
	v_and_b32_e32 v9, 0xffff0000, v1
	s_lshl_b64 s[0:1], s[0:1], 1
	v_and_b32_e32 v10, 0xffff0000, v0
	v_add_co_u32 v4, vcc_lo, v6, s0
	v_add_co_ci_u32_e32 v5, vcc_lo, s1, v7, vcc_lo
	v_and_b32_e32 v11, 0xffff0000, v11
	s_mov_b32 s0, 0
	global_load_b64 v[2:3], v[4:5], off
	s_branch .LBB7_144
.LBB7_143:                              ;   in Loop: Header=BB7_144 Depth=1
	s_or_b32 exec_lo, exec_lo, s1
	v_lshrrev_b32_e32 v1, 16, v1
	s_delay_alu instid0(VALU_DEP_2) | instskip(SKIP_1) | instid1(VALU_DEP_2)
	v_and_b32_e32 v13, 0xffff0000, v14
	v_lshrrev_b32_e32 v0, 16, v0
	v_or_b32_e32 v1, v13, v1
	s_delay_alu instid0(VALU_DEP_2)
	v_and_or_b32 v0, 0xffff0000, v12, v0
	global_atomic_cmpswap_b64 v[0:1], v[4:5], v[0:3], off glc
	s_waitcnt vmcnt(0)
	v_cmp_eq_u64_e32 vcc_lo, v[0:1], v[2:3]
	v_dual_mov_b32 v3, v1 :: v_dual_mov_b32 v2, v0
	s_or_b32 s0, vcc_lo, s0
	s_delay_alu instid0(SALU_CYCLE_1)
	s_and_not1_b32 exec_lo, exec_lo, s0
	s_cbranch_execz .LBB7_160
.LBB7_144:                              ; =>This Inner Loop Header: Depth=1
	s_waitcnt vmcnt(0)
	v_lshlrev_b32_e32 v0, 16, v2
	s_delay_alu instid0(VALU_DEP_1) | instskip(NEXT) | instid1(VALU_DEP_1)
	v_add_f32_e32 v1, v10, v0
	v_and_b32_e32 v0, 0x7f800000, v1
	s_delay_alu instid0(VALU_DEP_1) | instskip(SKIP_1) | instid1(SALU_CYCLE_1)
	v_cmp_ne_u32_e32 vcc_lo, 0x7f800000, v0
                                        ; implicit-def: $vgpr0
	s_and_saveexec_b32 s1, vcc_lo
	s_xor_b32 s1, exec_lo, s1
; %bb.145:                              ;   in Loop: Header=BB7_144 Depth=1
	v_bfe_u32 v0, v1, 16, 1
	s_delay_alu instid0(VALU_DEP_1)
	v_add3_u32 v0, v1, v0, 0x7fff
                                        ; implicit-def: $vgpr1
; %bb.146:                              ;   in Loop: Header=BB7_144 Depth=1
	s_and_not1_saveexec_b32 s1, s1
; %bb.147:                              ;   in Loop: Header=BB7_144 Depth=1
	v_and_b32_e32 v0, 0xffff, v1
	v_or_b32_e32 v12, 0x10000, v1
	s_delay_alu instid0(VALU_DEP_2) | instskip(NEXT) | instid1(VALU_DEP_2)
	v_cmp_eq_u32_e32 vcc_lo, 0, v0
	v_cndmask_b32_e32 v0, v12, v1, vcc_lo
; %bb.148:                              ;   in Loop: Header=BB7_144 Depth=1
	s_or_b32 exec_lo, exec_lo, s1
	v_and_b32_e32 v1, 0xffff0000, v2
	s_delay_alu instid0(VALU_DEP_1) | instskip(NEXT) | instid1(VALU_DEP_1)
	v_add_f32_e32 v1, v9, v1
	v_and_b32_e32 v12, 0x7f800000, v1
	s_delay_alu instid0(VALU_DEP_1) | instskip(SKIP_1) | instid1(SALU_CYCLE_1)
	v_cmp_ne_u32_e32 vcc_lo, 0x7f800000, v12
                                        ; implicit-def: $vgpr12
	s_and_saveexec_b32 s1, vcc_lo
	s_xor_b32 s1, exec_lo, s1
; %bb.149:                              ;   in Loop: Header=BB7_144 Depth=1
	v_bfe_u32 v12, v1, 16, 1
	s_delay_alu instid0(VALU_DEP_1)
	v_add3_u32 v12, v1, v12, 0x7fff
                                        ; implicit-def: $vgpr1
; %bb.150:                              ;   in Loop: Header=BB7_144 Depth=1
	s_and_not1_saveexec_b32 s1, s1
; %bb.151:                              ;   in Loop: Header=BB7_144 Depth=1
	v_and_b32_e32 v12, 0xffff, v1
	v_or_b32_e32 v13, 0x10000, v1
	s_delay_alu instid0(VALU_DEP_2) | instskip(NEXT) | instid1(VALU_DEP_2)
	v_cmp_eq_u32_e32 vcc_lo, 0, v12
	v_cndmask_b32_e32 v12, v13, v1, vcc_lo
; %bb.152:                              ;   in Loop: Header=BB7_144 Depth=1
	s_or_b32 exec_lo, exec_lo, s1
	v_alignbit_b32 v1, v3, v2, 16
	s_delay_alu instid0(VALU_DEP_1) | instskip(NEXT) | instid1(VALU_DEP_1)
	v_and_b32_e32 v1, 0xffff0000, v1
	v_add_f32_e32 v13, v8, v1
	s_delay_alu instid0(VALU_DEP_1) | instskip(NEXT) | instid1(VALU_DEP_1)
	v_and_b32_e32 v1, 0x7f800000, v13
	v_cmp_ne_u32_e32 vcc_lo, 0x7f800000, v1
                                        ; implicit-def: $vgpr1
	s_and_saveexec_b32 s1, vcc_lo
	s_delay_alu instid0(SALU_CYCLE_1)
	s_xor_b32 s1, exec_lo, s1
; %bb.153:                              ;   in Loop: Header=BB7_144 Depth=1
	v_bfe_u32 v1, v13, 16, 1
	s_delay_alu instid0(VALU_DEP_1)
	v_add3_u32 v1, v13, v1, 0x7fff
                                        ; implicit-def: $vgpr13
; %bb.154:                              ;   in Loop: Header=BB7_144 Depth=1
	s_and_not1_saveexec_b32 s1, s1
; %bb.155:                              ;   in Loop: Header=BB7_144 Depth=1
	v_and_b32_e32 v1, 0xffff, v13
	v_or_b32_e32 v14, 0x10000, v13
	s_delay_alu instid0(VALU_DEP_2) | instskip(NEXT) | instid1(VALU_DEP_2)
	v_cmp_eq_u32_e32 vcc_lo, 0, v1
	v_cndmask_b32_e32 v1, v14, v13, vcc_lo
; %bb.156:                              ;   in Loop: Header=BB7_144 Depth=1
	s_or_b32 exec_lo, exec_lo, s1
	v_and_b32_e32 v13, 0xffff0000, v3
	s_delay_alu instid0(VALU_DEP_1) | instskip(NEXT) | instid1(VALU_DEP_1)
	v_add_f32_e32 v13, v11, v13
	v_and_b32_e32 v14, 0x7f800000, v13
	s_delay_alu instid0(VALU_DEP_1) | instskip(SKIP_1) | instid1(SALU_CYCLE_1)
	v_cmp_ne_u32_e32 vcc_lo, 0x7f800000, v14
                                        ; implicit-def: $vgpr14
	s_and_saveexec_b32 s1, vcc_lo
	s_xor_b32 s1, exec_lo, s1
; %bb.157:                              ;   in Loop: Header=BB7_144 Depth=1
	v_bfe_u32 v14, v13, 16, 1
	s_delay_alu instid0(VALU_DEP_1)
	v_add3_u32 v14, v13, v14, 0x7fff
                                        ; implicit-def: $vgpr13
; %bb.158:                              ;   in Loop: Header=BB7_144 Depth=1
	s_and_not1_saveexec_b32 s1, s1
	s_cbranch_execz .LBB7_143
; %bb.159:                              ;   in Loop: Header=BB7_144 Depth=1
	v_and_b32_e32 v14, 0xffff, v13
	v_or_b32_e32 v15, 0x10000, v13
	s_delay_alu instid0(VALU_DEP_2) | instskip(NEXT) | instid1(VALU_DEP_2)
	v_cmp_eq_u32_e32 vcc_lo, 0, v14
	v_cndmask_b32_e32 v14, v15, v13, vcc_lo
	s_branch .LBB7_143
.LBB7_160:
	s_or_b32 exec_lo, exec_lo, s0
	s_or_b32 s0, s12, 3
	s_delay_alu instid0(SALU_CYCLE_1)
	s_cmp_ge_i32 s0, s8
	s_cbranch_scc1 .LBB7_52
.LBB7_161:
	scratch_load_b32 v1, off, off offset:48
	s_waitcnt vmcnt(0)
	v_and_b32_e32 v0, 0x7f800000, v1
	s_delay_alu instid0(VALU_DEP_1) | instskip(SKIP_1) | instid1(SALU_CYCLE_1)
	v_cmp_ne_u32_e32 vcc_lo, 0x7f800000, v0
                                        ; implicit-def: $vgpr0
	s_and_saveexec_b32 s1, vcc_lo
	s_xor_b32 s1, exec_lo, s1
; %bb.162:
	v_bfe_u32 v0, v1, 16, 1
	s_delay_alu instid0(VALU_DEP_1)
	v_add3_u32 v0, v1, v0, 0x7fff
                                        ; implicit-def: $vgpr1
; %bb.163:
	s_and_not1_saveexec_b32 s1, s1
; %bb.164:
	v_and_b32_e32 v0, 0xffff, v1
	v_or_b32_e32 v2, 0x10000, v1
	s_delay_alu instid0(VALU_DEP_2) | instskip(NEXT) | instid1(VALU_DEP_2)
	v_cmp_eq_u32_e32 vcc_lo, 0, v0
	v_cndmask_b32_e32 v0, v2, v1, vcc_lo
; %bb.165:
	s_or_b32 exec_lo, exec_lo, s1
	scratch_load_b32 v2, off, off offset:52
	s_waitcnt vmcnt(0)
	v_and_b32_e32 v1, 0x7f800000, v2
	s_delay_alu instid0(VALU_DEP_1) | instskip(SKIP_1) | instid1(SALU_CYCLE_1)
	v_cmp_ne_u32_e32 vcc_lo, 0x7f800000, v1
                                        ; implicit-def: $vgpr1
	s_and_saveexec_b32 s1, vcc_lo
	s_xor_b32 s1, exec_lo, s1
; %bb.166:
	v_bfe_u32 v1, v2, 16, 1
	s_delay_alu instid0(VALU_DEP_1)
	v_add3_u32 v1, v2, v1, 0x7fff
                                        ; implicit-def: $vgpr2
; %bb.167:
	s_and_not1_saveexec_b32 s1, s1
; %bb.168:
	v_and_b32_e32 v1, 0xffff, v2
	v_or_b32_e32 v3, 0x10000, v2
	s_delay_alu instid0(VALU_DEP_2) | instskip(NEXT) | instid1(VALU_DEP_2)
	v_cmp_eq_u32_e32 vcc_lo, 0, v1
	v_cndmask_b32_e32 v1, v3, v2, vcc_lo
; %bb.169:
	s_or_b32 exec_lo, exec_lo, s1
	scratch_load_b32 v2, off, off offset:56
	s_mov_b32 s1, exec_lo
                                        ; implicit-def: $vgpr8
	s_waitcnt vmcnt(0)
	v_and_b32_e32 v3, 0x7f800000, v2
	s_delay_alu instid0(VALU_DEP_1)
	v_cmpx_ne_u32_e32 0x7f800000, v3
	s_xor_b32 s1, exec_lo, s1
; %bb.170:
	v_bfe_u32 v3, v2, 16, 1
	s_delay_alu instid0(VALU_DEP_1)
	v_add3_u32 v8, v2, v3, 0x7fff
                                        ; implicit-def: $vgpr2
; %bb.171:
	s_and_not1_saveexec_b32 s1, s1
; %bb.172:
	v_and_b32_e32 v3, 0xffff, v2
	v_or_b32_e32 v4, 0x10000, v2
	s_delay_alu instid0(VALU_DEP_2) | instskip(NEXT) | instid1(VALU_DEP_2)
	v_cmp_eq_u32_e32 vcc_lo, 0, v3
	v_cndmask_b32_e32 v8, v4, v2, vcc_lo
; %bb.173:
	s_or_b32 exec_lo, exec_lo, s1
	scratch_load_b32 v2, off, off offset:60
	s_mov_b32 s1, exec_lo
                                        ; implicit-def: $vgpr11
	s_waitcnt vmcnt(0)
	v_and_b32_e32 v3, 0x7f800000, v2
	s_delay_alu instid0(VALU_DEP_1)
	v_cmpx_ne_u32_e32 0x7f800000, v3
	s_xor_b32 s1, exec_lo, s1
; %bb.174:
	v_bfe_u32 v3, v2, 16, 1
	s_delay_alu instid0(VALU_DEP_1)
	v_add3_u32 v11, v2, v3, 0x7fff
                                        ; implicit-def: $vgpr2
; %bb.175:
	s_and_not1_saveexec_b32 s1, s1
; %bb.176:
	v_and_b32_e32 v3, 0xffff, v2
	v_or_b32_e32 v4, 0x10000, v2
	s_delay_alu instid0(VALU_DEP_2) | instskip(NEXT) | instid1(VALU_DEP_2)
	v_cmp_eq_u32_e32 vcc_lo, 0, v3
	v_cndmask_b32_e32 v11, v4, v2, vcc_lo
; %bb.177:
	s_or_b32 exec_lo, exec_lo, s1
	s_mul_i32 s0, s0, s9
	v_and_b32_e32 v8, 0xffff0000, v8
	s_ashr_i32 s1, s0, 31
	v_and_b32_e32 v9, 0xffff0000, v1
	s_lshl_b64 s[0:1], s[0:1], 1
	v_and_b32_e32 v10, 0xffff0000, v0
	v_add_co_u32 v4, vcc_lo, v6, s0
	v_add_co_ci_u32_e32 v5, vcc_lo, s1, v7, vcc_lo
	v_and_b32_e32 v11, 0xffff0000, v11
	s_mov_b32 s0, 0
	global_load_b64 v[2:3], v[4:5], off
	s_branch .LBB7_179
.LBB7_178:                              ;   in Loop: Header=BB7_179 Depth=1
	s_or_b32 exec_lo, exec_lo, s1
	v_lshrrev_b32_e32 v1, 16, v1
	s_delay_alu instid0(VALU_DEP_2) | instskip(SKIP_1) | instid1(VALU_DEP_2)
	v_and_b32_e32 v13, 0xffff0000, v14
	v_lshrrev_b32_e32 v0, 16, v0
	v_or_b32_e32 v1, v13, v1
	s_delay_alu instid0(VALU_DEP_2)
	v_and_or_b32 v0, 0xffff0000, v12, v0
	global_atomic_cmpswap_b64 v[0:1], v[4:5], v[0:3], off glc
	s_waitcnt vmcnt(0)
	v_cmp_eq_u64_e32 vcc_lo, v[0:1], v[2:3]
	v_dual_mov_b32 v3, v1 :: v_dual_mov_b32 v2, v0
	s_or_b32 s0, vcc_lo, s0
	s_delay_alu instid0(SALU_CYCLE_1)
	s_and_not1_b32 exec_lo, exec_lo, s0
	s_cbranch_execz .LBB7_195
.LBB7_179:                              ; =>This Inner Loop Header: Depth=1
	s_waitcnt vmcnt(0)
	v_lshlrev_b32_e32 v0, 16, v2
	s_delay_alu instid0(VALU_DEP_1) | instskip(NEXT) | instid1(VALU_DEP_1)
	v_add_f32_e32 v1, v10, v0
	v_and_b32_e32 v0, 0x7f800000, v1
	s_delay_alu instid0(VALU_DEP_1) | instskip(SKIP_1) | instid1(SALU_CYCLE_1)
	v_cmp_ne_u32_e32 vcc_lo, 0x7f800000, v0
                                        ; implicit-def: $vgpr0
	s_and_saveexec_b32 s1, vcc_lo
	s_xor_b32 s1, exec_lo, s1
; %bb.180:                              ;   in Loop: Header=BB7_179 Depth=1
	v_bfe_u32 v0, v1, 16, 1
	s_delay_alu instid0(VALU_DEP_1)
	v_add3_u32 v0, v1, v0, 0x7fff
                                        ; implicit-def: $vgpr1
; %bb.181:                              ;   in Loop: Header=BB7_179 Depth=1
	s_and_not1_saveexec_b32 s1, s1
; %bb.182:                              ;   in Loop: Header=BB7_179 Depth=1
	v_and_b32_e32 v0, 0xffff, v1
	v_or_b32_e32 v12, 0x10000, v1
	s_delay_alu instid0(VALU_DEP_2) | instskip(NEXT) | instid1(VALU_DEP_2)
	v_cmp_eq_u32_e32 vcc_lo, 0, v0
	v_cndmask_b32_e32 v0, v12, v1, vcc_lo
; %bb.183:                              ;   in Loop: Header=BB7_179 Depth=1
	s_or_b32 exec_lo, exec_lo, s1
	v_and_b32_e32 v1, 0xffff0000, v2
	s_delay_alu instid0(VALU_DEP_1) | instskip(NEXT) | instid1(VALU_DEP_1)
	v_add_f32_e32 v1, v9, v1
	v_and_b32_e32 v12, 0x7f800000, v1
	s_delay_alu instid0(VALU_DEP_1) | instskip(SKIP_1) | instid1(SALU_CYCLE_1)
	v_cmp_ne_u32_e32 vcc_lo, 0x7f800000, v12
                                        ; implicit-def: $vgpr12
	s_and_saveexec_b32 s1, vcc_lo
	s_xor_b32 s1, exec_lo, s1
; %bb.184:                              ;   in Loop: Header=BB7_179 Depth=1
	v_bfe_u32 v12, v1, 16, 1
	s_delay_alu instid0(VALU_DEP_1)
	v_add3_u32 v12, v1, v12, 0x7fff
                                        ; implicit-def: $vgpr1
; %bb.185:                              ;   in Loop: Header=BB7_179 Depth=1
	s_and_not1_saveexec_b32 s1, s1
; %bb.186:                              ;   in Loop: Header=BB7_179 Depth=1
	v_and_b32_e32 v12, 0xffff, v1
	v_or_b32_e32 v13, 0x10000, v1
	s_delay_alu instid0(VALU_DEP_2) | instskip(NEXT) | instid1(VALU_DEP_2)
	v_cmp_eq_u32_e32 vcc_lo, 0, v12
	v_cndmask_b32_e32 v12, v13, v1, vcc_lo
; %bb.187:                              ;   in Loop: Header=BB7_179 Depth=1
	s_or_b32 exec_lo, exec_lo, s1
	v_alignbit_b32 v1, v3, v2, 16
	s_delay_alu instid0(VALU_DEP_1) | instskip(NEXT) | instid1(VALU_DEP_1)
	v_and_b32_e32 v1, 0xffff0000, v1
	v_add_f32_e32 v13, v8, v1
	s_delay_alu instid0(VALU_DEP_1) | instskip(NEXT) | instid1(VALU_DEP_1)
	v_and_b32_e32 v1, 0x7f800000, v13
	v_cmp_ne_u32_e32 vcc_lo, 0x7f800000, v1
                                        ; implicit-def: $vgpr1
	s_and_saveexec_b32 s1, vcc_lo
	s_delay_alu instid0(SALU_CYCLE_1)
	s_xor_b32 s1, exec_lo, s1
; %bb.188:                              ;   in Loop: Header=BB7_179 Depth=1
	v_bfe_u32 v1, v13, 16, 1
	s_delay_alu instid0(VALU_DEP_1)
	v_add3_u32 v1, v13, v1, 0x7fff
                                        ; implicit-def: $vgpr13
; %bb.189:                              ;   in Loop: Header=BB7_179 Depth=1
	s_and_not1_saveexec_b32 s1, s1
; %bb.190:                              ;   in Loop: Header=BB7_179 Depth=1
	v_and_b32_e32 v1, 0xffff, v13
	v_or_b32_e32 v14, 0x10000, v13
	s_delay_alu instid0(VALU_DEP_2) | instskip(NEXT) | instid1(VALU_DEP_2)
	v_cmp_eq_u32_e32 vcc_lo, 0, v1
	v_cndmask_b32_e32 v1, v14, v13, vcc_lo
; %bb.191:                              ;   in Loop: Header=BB7_179 Depth=1
	s_or_b32 exec_lo, exec_lo, s1
	v_and_b32_e32 v13, 0xffff0000, v3
	s_delay_alu instid0(VALU_DEP_1) | instskip(NEXT) | instid1(VALU_DEP_1)
	v_add_f32_e32 v13, v11, v13
	v_and_b32_e32 v14, 0x7f800000, v13
	s_delay_alu instid0(VALU_DEP_1) | instskip(SKIP_1) | instid1(SALU_CYCLE_1)
	v_cmp_ne_u32_e32 vcc_lo, 0x7f800000, v14
                                        ; implicit-def: $vgpr14
	s_and_saveexec_b32 s1, vcc_lo
	s_xor_b32 s1, exec_lo, s1
; %bb.192:                              ;   in Loop: Header=BB7_179 Depth=1
	v_bfe_u32 v14, v13, 16, 1
	s_delay_alu instid0(VALU_DEP_1)
	v_add3_u32 v14, v13, v14, 0x7fff
                                        ; implicit-def: $vgpr13
; %bb.193:                              ;   in Loop: Header=BB7_179 Depth=1
	s_and_not1_saveexec_b32 s1, s1
	s_cbranch_execz .LBB7_178
; %bb.194:                              ;   in Loop: Header=BB7_179 Depth=1
	v_and_b32_e32 v14, 0xffff, v13
	v_or_b32_e32 v15, 0x10000, v13
	s_delay_alu instid0(VALU_DEP_2) | instskip(NEXT) | instid1(VALU_DEP_2)
	v_cmp_eq_u32_e32 vcc_lo, 0, v14
	v_cndmask_b32_e32 v14, v15, v13, vcc_lo
	s_branch .LBB7_178
.LBB7_195:
	s_or_b32 exec_lo, exec_lo, s0
	s_or_b32 s0, s12, 4
	s_delay_alu instid0(SALU_CYCLE_1)
	s_cmp_ge_i32 s0, s8
	s_cbranch_scc1 .LBB7_53
.LBB7_196:
	scratch_load_b32 v1, off, off offset:64
	s_waitcnt vmcnt(0)
	v_and_b32_e32 v0, 0x7f800000, v1
	s_delay_alu instid0(VALU_DEP_1) | instskip(SKIP_1) | instid1(SALU_CYCLE_1)
	v_cmp_ne_u32_e32 vcc_lo, 0x7f800000, v0
                                        ; implicit-def: $vgpr0
	s_and_saveexec_b32 s1, vcc_lo
	s_xor_b32 s1, exec_lo, s1
; %bb.197:
	v_bfe_u32 v0, v1, 16, 1
	s_delay_alu instid0(VALU_DEP_1)
	v_add3_u32 v0, v1, v0, 0x7fff
                                        ; implicit-def: $vgpr1
; %bb.198:
	s_and_not1_saveexec_b32 s1, s1
; %bb.199:
	v_and_b32_e32 v0, 0xffff, v1
	v_or_b32_e32 v2, 0x10000, v1
	s_delay_alu instid0(VALU_DEP_2) | instskip(NEXT) | instid1(VALU_DEP_2)
	v_cmp_eq_u32_e32 vcc_lo, 0, v0
	v_cndmask_b32_e32 v0, v2, v1, vcc_lo
; %bb.200:
	s_or_b32 exec_lo, exec_lo, s1
	scratch_load_b32 v2, off, off offset:68
	s_waitcnt vmcnt(0)
	v_and_b32_e32 v1, 0x7f800000, v2
	s_delay_alu instid0(VALU_DEP_1) | instskip(SKIP_1) | instid1(SALU_CYCLE_1)
	v_cmp_ne_u32_e32 vcc_lo, 0x7f800000, v1
                                        ; implicit-def: $vgpr1
	s_and_saveexec_b32 s1, vcc_lo
	s_xor_b32 s1, exec_lo, s1
; %bb.201:
	v_bfe_u32 v1, v2, 16, 1
	s_delay_alu instid0(VALU_DEP_1)
	v_add3_u32 v1, v2, v1, 0x7fff
                                        ; implicit-def: $vgpr2
; %bb.202:
	s_and_not1_saveexec_b32 s1, s1
; %bb.203:
	v_and_b32_e32 v1, 0xffff, v2
	v_or_b32_e32 v3, 0x10000, v2
	s_delay_alu instid0(VALU_DEP_2) | instskip(NEXT) | instid1(VALU_DEP_2)
	v_cmp_eq_u32_e32 vcc_lo, 0, v1
	v_cndmask_b32_e32 v1, v3, v2, vcc_lo
; %bb.204:
	s_or_b32 exec_lo, exec_lo, s1
	scratch_load_b32 v2, off, off offset:72
	s_mov_b32 s1, exec_lo
                                        ; implicit-def: $vgpr8
	s_waitcnt vmcnt(0)
	v_and_b32_e32 v3, 0x7f800000, v2
	s_delay_alu instid0(VALU_DEP_1)
	v_cmpx_ne_u32_e32 0x7f800000, v3
	s_xor_b32 s1, exec_lo, s1
; %bb.205:
	v_bfe_u32 v3, v2, 16, 1
	s_delay_alu instid0(VALU_DEP_1)
	v_add3_u32 v8, v2, v3, 0x7fff
                                        ; implicit-def: $vgpr2
; %bb.206:
	s_and_not1_saveexec_b32 s1, s1
; %bb.207:
	v_and_b32_e32 v3, 0xffff, v2
	v_or_b32_e32 v4, 0x10000, v2
	s_delay_alu instid0(VALU_DEP_2) | instskip(NEXT) | instid1(VALU_DEP_2)
	v_cmp_eq_u32_e32 vcc_lo, 0, v3
	v_cndmask_b32_e32 v8, v4, v2, vcc_lo
; %bb.208:
	s_or_b32 exec_lo, exec_lo, s1
	scratch_load_b32 v2, off, off offset:76
	s_mov_b32 s1, exec_lo
                                        ; implicit-def: $vgpr11
	s_waitcnt vmcnt(0)
	v_and_b32_e32 v3, 0x7f800000, v2
	s_delay_alu instid0(VALU_DEP_1)
	v_cmpx_ne_u32_e32 0x7f800000, v3
	s_xor_b32 s1, exec_lo, s1
; %bb.209:
	v_bfe_u32 v3, v2, 16, 1
	s_delay_alu instid0(VALU_DEP_1)
	v_add3_u32 v11, v2, v3, 0x7fff
                                        ; implicit-def: $vgpr2
; %bb.210:
	s_and_not1_saveexec_b32 s1, s1
; %bb.211:
	v_and_b32_e32 v3, 0xffff, v2
	v_or_b32_e32 v4, 0x10000, v2
	s_delay_alu instid0(VALU_DEP_2) | instskip(NEXT) | instid1(VALU_DEP_2)
	v_cmp_eq_u32_e32 vcc_lo, 0, v3
	v_cndmask_b32_e32 v11, v4, v2, vcc_lo
; %bb.212:
	s_or_b32 exec_lo, exec_lo, s1
	s_mul_i32 s0, s0, s9
	v_and_b32_e32 v8, 0xffff0000, v8
	s_ashr_i32 s1, s0, 31
	v_and_b32_e32 v9, 0xffff0000, v1
	s_lshl_b64 s[0:1], s[0:1], 1
	v_and_b32_e32 v10, 0xffff0000, v0
	v_add_co_u32 v4, vcc_lo, v6, s0
	v_add_co_ci_u32_e32 v5, vcc_lo, s1, v7, vcc_lo
	v_and_b32_e32 v11, 0xffff0000, v11
	s_mov_b32 s0, 0
	global_load_b64 v[2:3], v[4:5], off
	s_branch .LBB7_214
.LBB7_213:                              ;   in Loop: Header=BB7_214 Depth=1
	s_or_b32 exec_lo, exec_lo, s1
	v_lshrrev_b32_e32 v1, 16, v1
	s_delay_alu instid0(VALU_DEP_2) | instskip(SKIP_1) | instid1(VALU_DEP_2)
	v_and_b32_e32 v13, 0xffff0000, v14
	v_lshrrev_b32_e32 v0, 16, v0
	v_or_b32_e32 v1, v13, v1
	s_delay_alu instid0(VALU_DEP_2)
	v_and_or_b32 v0, 0xffff0000, v12, v0
	global_atomic_cmpswap_b64 v[0:1], v[4:5], v[0:3], off glc
	s_waitcnt vmcnt(0)
	v_cmp_eq_u64_e32 vcc_lo, v[0:1], v[2:3]
	v_dual_mov_b32 v3, v1 :: v_dual_mov_b32 v2, v0
	s_or_b32 s0, vcc_lo, s0
	s_delay_alu instid0(SALU_CYCLE_1)
	s_and_not1_b32 exec_lo, exec_lo, s0
	s_cbranch_execz .LBB7_230
.LBB7_214:                              ; =>This Inner Loop Header: Depth=1
	s_waitcnt vmcnt(0)
	v_lshlrev_b32_e32 v0, 16, v2
	s_delay_alu instid0(VALU_DEP_1) | instskip(NEXT) | instid1(VALU_DEP_1)
	v_add_f32_e32 v1, v10, v0
	v_and_b32_e32 v0, 0x7f800000, v1
	s_delay_alu instid0(VALU_DEP_1) | instskip(SKIP_1) | instid1(SALU_CYCLE_1)
	v_cmp_ne_u32_e32 vcc_lo, 0x7f800000, v0
                                        ; implicit-def: $vgpr0
	s_and_saveexec_b32 s1, vcc_lo
	s_xor_b32 s1, exec_lo, s1
; %bb.215:                              ;   in Loop: Header=BB7_214 Depth=1
	v_bfe_u32 v0, v1, 16, 1
	s_delay_alu instid0(VALU_DEP_1)
	v_add3_u32 v0, v1, v0, 0x7fff
                                        ; implicit-def: $vgpr1
; %bb.216:                              ;   in Loop: Header=BB7_214 Depth=1
	s_and_not1_saveexec_b32 s1, s1
; %bb.217:                              ;   in Loop: Header=BB7_214 Depth=1
	v_and_b32_e32 v0, 0xffff, v1
	v_or_b32_e32 v12, 0x10000, v1
	s_delay_alu instid0(VALU_DEP_2) | instskip(NEXT) | instid1(VALU_DEP_2)
	v_cmp_eq_u32_e32 vcc_lo, 0, v0
	v_cndmask_b32_e32 v0, v12, v1, vcc_lo
; %bb.218:                              ;   in Loop: Header=BB7_214 Depth=1
	s_or_b32 exec_lo, exec_lo, s1
	v_and_b32_e32 v1, 0xffff0000, v2
	s_delay_alu instid0(VALU_DEP_1) | instskip(NEXT) | instid1(VALU_DEP_1)
	v_add_f32_e32 v1, v9, v1
	v_and_b32_e32 v12, 0x7f800000, v1
	s_delay_alu instid0(VALU_DEP_1) | instskip(SKIP_1) | instid1(SALU_CYCLE_1)
	v_cmp_ne_u32_e32 vcc_lo, 0x7f800000, v12
                                        ; implicit-def: $vgpr12
	s_and_saveexec_b32 s1, vcc_lo
	s_xor_b32 s1, exec_lo, s1
; %bb.219:                              ;   in Loop: Header=BB7_214 Depth=1
	v_bfe_u32 v12, v1, 16, 1
	s_delay_alu instid0(VALU_DEP_1)
	v_add3_u32 v12, v1, v12, 0x7fff
                                        ; implicit-def: $vgpr1
; %bb.220:                              ;   in Loop: Header=BB7_214 Depth=1
	s_and_not1_saveexec_b32 s1, s1
; %bb.221:                              ;   in Loop: Header=BB7_214 Depth=1
	v_and_b32_e32 v12, 0xffff, v1
	v_or_b32_e32 v13, 0x10000, v1
	s_delay_alu instid0(VALU_DEP_2) | instskip(NEXT) | instid1(VALU_DEP_2)
	v_cmp_eq_u32_e32 vcc_lo, 0, v12
	v_cndmask_b32_e32 v12, v13, v1, vcc_lo
; %bb.222:                              ;   in Loop: Header=BB7_214 Depth=1
	s_or_b32 exec_lo, exec_lo, s1
	v_alignbit_b32 v1, v3, v2, 16
	s_delay_alu instid0(VALU_DEP_1) | instskip(NEXT) | instid1(VALU_DEP_1)
	v_and_b32_e32 v1, 0xffff0000, v1
	v_add_f32_e32 v13, v8, v1
	s_delay_alu instid0(VALU_DEP_1) | instskip(NEXT) | instid1(VALU_DEP_1)
	v_and_b32_e32 v1, 0x7f800000, v13
	v_cmp_ne_u32_e32 vcc_lo, 0x7f800000, v1
                                        ; implicit-def: $vgpr1
	s_and_saveexec_b32 s1, vcc_lo
	s_delay_alu instid0(SALU_CYCLE_1)
	s_xor_b32 s1, exec_lo, s1
; %bb.223:                              ;   in Loop: Header=BB7_214 Depth=1
	v_bfe_u32 v1, v13, 16, 1
	s_delay_alu instid0(VALU_DEP_1)
	v_add3_u32 v1, v13, v1, 0x7fff
                                        ; implicit-def: $vgpr13
; %bb.224:                              ;   in Loop: Header=BB7_214 Depth=1
	s_and_not1_saveexec_b32 s1, s1
; %bb.225:                              ;   in Loop: Header=BB7_214 Depth=1
	v_and_b32_e32 v1, 0xffff, v13
	v_or_b32_e32 v14, 0x10000, v13
	s_delay_alu instid0(VALU_DEP_2) | instskip(NEXT) | instid1(VALU_DEP_2)
	v_cmp_eq_u32_e32 vcc_lo, 0, v1
	v_cndmask_b32_e32 v1, v14, v13, vcc_lo
; %bb.226:                              ;   in Loop: Header=BB7_214 Depth=1
	s_or_b32 exec_lo, exec_lo, s1
	v_and_b32_e32 v13, 0xffff0000, v3
	s_delay_alu instid0(VALU_DEP_1) | instskip(NEXT) | instid1(VALU_DEP_1)
	v_add_f32_e32 v13, v11, v13
	v_and_b32_e32 v14, 0x7f800000, v13
	s_delay_alu instid0(VALU_DEP_1) | instskip(SKIP_1) | instid1(SALU_CYCLE_1)
	v_cmp_ne_u32_e32 vcc_lo, 0x7f800000, v14
                                        ; implicit-def: $vgpr14
	s_and_saveexec_b32 s1, vcc_lo
	s_xor_b32 s1, exec_lo, s1
; %bb.227:                              ;   in Loop: Header=BB7_214 Depth=1
	v_bfe_u32 v14, v13, 16, 1
	s_delay_alu instid0(VALU_DEP_1)
	v_add3_u32 v14, v13, v14, 0x7fff
                                        ; implicit-def: $vgpr13
; %bb.228:                              ;   in Loop: Header=BB7_214 Depth=1
	s_and_not1_saveexec_b32 s1, s1
	s_cbranch_execz .LBB7_213
; %bb.229:                              ;   in Loop: Header=BB7_214 Depth=1
	v_and_b32_e32 v14, 0xffff, v13
	v_or_b32_e32 v15, 0x10000, v13
	s_delay_alu instid0(VALU_DEP_2) | instskip(NEXT) | instid1(VALU_DEP_2)
	v_cmp_eq_u32_e32 vcc_lo, 0, v14
	v_cndmask_b32_e32 v14, v15, v13, vcc_lo
	s_branch .LBB7_213
.LBB7_230:
	s_or_b32 exec_lo, exec_lo, s0
	s_or_b32 s0, s12, 5
	s_delay_alu instid0(SALU_CYCLE_1)
	s_cmp_ge_i32 s0, s8
	s_cbranch_scc1 .LBB7_54
.LBB7_231:
	scratch_load_b32 v1, off, off offset:80
	s_waitcnt vmcnt(0)
	v_and_b32_e32 v0, 0x7f800000, v1
	s_delay_alu instid0(VALU_DEP_1) | instskip(SKIP_1) | instid1(SALU_CYCLE_1)
	v_cmp_ne_u32_e32 vcc_lo, 0x7f800000, v0
                                        ; implicit-def: $vgpr0
	s_and_saveexec_b32 s1, vcc_lo
	s_xor_b32 s1, exec_lo, s1
; %bb.232:
	v_bfe_u32 v0, v1, 16, 1
	s_delay_alu instid0(VALU_DEP_1)
	v_add3_u32 v0, v1, v0, 0x7fff
                                        ; implicit-def: $vgpr1
; %bb.233:
	s_and_not1_saveexec_b32 s1, s1
; %bb.234:
	v_and_b32_e32 v0, 0xffff, v1
	v_or_b32_e32 v2, 0x10000, v1
	s_delay_alu instid0(VALU_DEP_2) | instskip(NEXT) | instid1(VALU_DEP_2)
	v_cmp_eq_u32_e32 vcc_lo, 0, v0
	v_cndmask_b32_e32 v0, v2, v1, vcc_lo
; %bb.235:
	s_or_b32 exec_lo, exec_lo, s1
	scratch_load_b32 v2, off, off offset:84
	s_waitcnt vmcnt(0)
	v_and_b32_e32 v1, 0x7f800000, v2
	s_delay_alu instid0(VALU_DEP_1) | instskip(SKIP_1) | instid1(SALU_CYCLE_1)
	v_cmp_ne_u32_e32 vcc_lo, 0x7f800000, v1
                                        ; implicit-def: $vgpr1
	s_and_saveexec_b32 s1, vcc_lo
	s_xor_b32 s1, exec_lo, s1
; %bb.236:
	v_bfe_u32 v1, v2, 16, 1
	s_delay_alu instid0(VALU_DEP_1)
	v_add3_u32 v1, v2, v1, 0x7fff
                                        ; implicit-def: $vgpr2
; %bb.237:
	s_and_not1_saveexec_b32 s1, s1
; %bb.238:
	v_and_b32_e32 v1, 0xffff, v2
	v_or_b32_e32 v3, 0x10000, v2
	s_delay_alu instid0(VALU_DEP_2) | instskip(NEXT) | instid1(VALU_DEP_2)
	v_cmp_eq_u32_e32 vcc_lo, 0, v1
	v_cndmask_b32_e32 v1, v3, v2, vcc_lo
; %bb.239:
	s_or_b32 exec_lo, exec_lo, s1
	scratch_load_b32 v2, off, off offset:88
	s_mov_b32 s1, exec_lo
                                        ; implicit-def: $vgpr8
	s_waitcnt vmcnt(0)
	v_and_b32_e32 v3, 0x7f800000, v2
	s_delay_alu instid0(VALU_DEP_1)
	v_cmpx_ne_u32_e32 0x7f800000, v3
	s_xor_b32 s1, exec_lo, s1
; %bb.240:
	v_bfe_u32 v3, v2, 16, 1
	s_delay_alu instid0(VALU_DEP_1)
	v_add3_u32 v8, v2, v3, 0x7fff
                                        ; implicit-def: $vgpr2
; %bb.241:
	s_and_not1_saveexec_b32 s1, s1
; %bb.242:
	v_and_b32_e32 v3, 0xffff, v2
	v_or_b32_e32 v4, 0x10000, v2
	s_delay_alu instid0(VALU_DEP_2) | instskip(NEXT) | instid1(VALU_DEP_2)
	v_cmp_eq_u32_e32 vcc_lo, 0, v3
	v_cndmask_b32_e32 v8, v4, v2, vcc_lo
; %bb.243:
	s_or_b32 exec_lo, exec_lo, s1
	scratch_load_b32 v2, off, off offset:92
	s_mov_b32 s1, exec_lo
                                        ; implicit-def: $vgpr11
	s_waitcnt vmcnt(0)
	v_and_b32_e32 v3, 0x7f800000, v2
	s_delay_alu instid0(VALU_DEP_1)
	v_cmpx_ne_u32_e32 0x7f800000, v3
	s_xor_b32 s1, exec_lo, s1
; %bb.244:
	v_bfe_u32 v3, v2, 16, 1
	s_delay_alu instid0(VALU_DEP_1)
	v_add3_u32 v11, v2, v3, 0x7fff
                                        ; implicit-def: $vgpr2
; %bb.245:
	s_and_not1_saveexec_b32 s1, s1
; %bb.246:
	v_and_b32_e32 v3, 0xffff, v2
	v_or_b32_e32 v4, 0x10000, v2
	s_delay_alu instid0(VALU_DEP_2) | instskip(NEXT) | instid1(VALU_DEP_2)
	v_cmp_eq_u32_e32 vcc_lo, 0, v3
	v_cndmask_b32_e32 v11, v4, v2, vcc_lo
; %bb.247:
	s_or_b32 exec_lo, exec_lo, s1
	s_mul_i32 s0, s0, s9
	v_and_b32_e32 v8, 0xffff0000, v8
	s_ashr_i32 s1, s0, 31
	v_and_b32_e32 v9, 0xffff0000, v1
	s_lshl_b64 s[0:1], s[0:1], 1
	v_and_b32_e32 v10, 0xffff0000, v0
	v_add_co_u32 v4, vcc_lo, v6, s0
	v_add_co_ci_u32_e32 v5, vcc_lo, s1, v7, vcc_lo
	v_and_b32_e32 v11, 0xffff0000, v11
	s_mov_b32 s0, 0
	global_load_b64 v[2:3], v[4:5], off
	s_branch .LBB7_249
.LBB7_248:                              ;   in Loop: Header=BB7_249 Depth=1
	s_or_b32 exec_lo, exec_lo, s1
	v_lshrrev_b32_e32 v1, 16, v1
	s_delay_alu instid0(VALU_DEP_2) | instskip(SKIP_1) | instid1(VALU_DEP_2)
	v_and_b32_e32 v13, 0xffff0000, v14
	v_lshrrev_b32_e32 v0, 16, v0
	v_or_b32_e32 v1, v13, v1
	s_delay_alu instid0(VALU_DEP_2)
	v_and_or_b32 v0, 0xffff0000, v12, v0
	global_atomic_cmpswap_b64 v[0:1], v[4:5], v[0:3], off glc
	s_waitcnt vmcnt(0)
	v_cmp_eq_u64_e32 vcc_lo, v[0:1], v[2:3]
	v_dual_mov_b32 v3, v1 :: v_dual_mov_b32 v2, v0
	s_or_b32 s0, vcc_lo, s0
	s_delay_alu instid0(SALU_CYCLE_1)
	s_and_not1_b32 exec_lo, exec_lo, s0
	s_cbranch_execz .LBB7_265
.LBB7_249:                              ; =>This Inner Loop Header: Depth=1
	s_waitcnt vmcnt(0)
	v_lshlrev_b32_e32 v0, 16, v2
	s_delay_alu instid0(VALU_DEP_1) | instskip(NEXT) | instid1(VALU_DEP_1)
	v_add_f32_e32 v1, v10, v0
	v_and_b32_e32 v0, 0x7f800000, v1
	s_delay_alu instid0(VALU_DEP_1) | instskip(SKIP_1) | instid1(SALU_CYCLE_1)
	v_cmp_ne_u32_e32 vcc_lo, 0x7f800000, v0
                                        ; implicit-def: $vgpr0
	s_and_saveexec_b32 s1, vcc_lo
	s_xor_b32 s1, exec_lo, s1
; %bb.250:                              ;   in Loop: Header=BB7_249 Depth=1
	v_bfe_u32 v0, v1, 16, 1
	s_delay_alu instid0(VALU_DEP_1)
	v_add3_u32 v0, v1, v0, 0x7fff
                                        ; implicit-def: $vgpr1
; %bb.251:                              ;   in Loop: Header=BB7_249 Depth=1
	s_and_not1_saveexec_b32 s1, s1
; %bb.252:                              ;   in Loop: Header=BB7_249 Depth=1
	v_and_b32_e32 v0, 0xffff, v1
	v_or_b32_e32 v12, 0x10000, v1
	s_delay_alu instid0(VALU_DEP_2) | instskip(NEXT) | instid1(VALU_DEP_2)
	v_cmp_eq_u32_e32 vcc_lo, 0, v0
	v_cndmask_b32_e32 v0, v12, v1, vcc_lo
; %bb.253:                              ;   in Loop: Header=BB7_249 Depth=1
	s_or_b32 exec_lo, exec_lo, s1
	v_and_b32_e32 v1, 0xffff0000, v2
	s_delay_alu instid0(VALU_DEP_1) | instskip(NEXT) | instid1(VALU_DEP_1)
	v_add_f32_e32 v1, v9, v1
	v_and_b32_e32 v12, 0x7f800000, v1
	s_delay_alu instid0(VALU_DEP_1) | instskip(SKIP_1) | instid1(SALU_CYCLE_1)
	v_cmp_ne_u32_e32 vcc_lo, 0x7f800000, v12
                                        ; implicit-def: $vgpr12
	s_and_saveexec_b32 s1, vcc_lo
	s_xor_b32 s1, exec_lo, s1
; %bb.254:                              ;   in Loop: Header=BB7_249 Depth=1
	v_bfe_u32 v12, v1, 16, 1
	s_delay_alu instid0(VALU_DEP_1)
	v_add3_u32 v12, v1, v12, 0x7fff
                                        ; implicit-def: $vgpr1
; %bb.255:                              ;   in Loop: Header=BB7_249 Depth=1
	s_and_not1_saveexec_b32 s1, s1
; %bb.256:                              ;   in Loop: Header=BB7_249 Depth=1
	v_and_b32_e32 v12, 0xffff, v1
	v_or_b32_e32 v13, 0x10000, v1
	s_delay_alu instid0(VALU_DEP_2) | instskip(NEXT) | instid1(VALU_DEP_2)
	v_cmp_eq_u32_e32 vcc_lo, 0, v12
	v_cndmask_b32_e32 v12, v13, v1, vcc_lo
; %bb.257:                              ;   in Loop: Header=BB7_249 Depth=1
	s_or_b32 exec_lo, exec_lo, s1
	v_alignbit_b32 v1, v3, v2, 16
	s_delay_alu instid0(VALU_DEP_1) | instskip(NEXT) | instid1(VALU_DEP_1)
	v_and_b32_e32 v1, 0xffff0000, v1
	v_add_f32_e32 v13, v8, v1
	s_delay_alu instid0(VALU_DEP_1) | instskip(NEXT) | instid1(VALU_DEP_1)
	v_and_b32_e32 v1, 0x7f800000, v13
	v_cmp_ne_u32_e32 vcc_lo, 0x7f800000, v1
                                        ; implicit-def: $vgpr1
	s_and_saveexec_b32 s1, vcc_lo
	s_delay_alu instid0(SALU_CYCLE_1)
	s_xor_b32 s1, exec_lo, s1
; %bb.258:                              ;   in Loop: Header=BB7_249 Depth=1
	v_bfe_u32 v1, v13, 16, 1
	s_delay_alu instid0(VALU_DEP_1)
	v_add3_u32 v1, v13, v1, 0x7fff
                                        ; implicit-def: $vgpr13
; %bb.259:                              ;   in Loop: Header=BB7_249 Depth=1
	s_and_not1_saveexec_b32 s1, s1
; %bb.260:                              ;   in Loop: Header=BB7_249 Depth=1
	v_and_b32_e32 v1, 0xffff, v13
	v_or_b32_e32 v14, 0x10000, v13
	s_delay_alu instid0(VALU_DEP_2) | instskip(NEXT) | instid1(VALU_DEP_2)
	v_cmp_eq_u32_e32 vcc_lo, 0, v1
	v_cndmask_b32_e32 v1, v14, v13, vcc_lo
; %bb.261:                              ;   in Loop: Header=BB7_249 Depth=1
	s_or_b32 exec_lo, exec_lo, s1
	v_and_b32_e32 v13, 0xffff0000, v3
	s_delay_alu instid0(VALU_DEP_1) | instskip(NEXT) | instid1(VALU_DEP_1)
	v_add_f32_e32 v13, v11, v13
	v_and_b32_e32 v14, 0x7f800000, v13
	s_delay_alu instid0(VALU_DEP_1) | instskip(SKIP_1) | instid1(SALU_CYCLE_1)
	v_cmp_ne_u32_e32 vcc_lo, 0x7f800000, v14
                                        ; implicit-def: $vgpr14
	s_and_saveexec_b32 s1, vcc_lo
	s_xor_b32 s1, exec_lo, s1
; %bb.262:                              ;   in Loop: Header=BB7_249 Depth=1
	v_bfe_u32 v14, v13, 16, 1
	s_delay_alu instid0(VALU_DEP_1)
	v_add3_u32 v14, v13, v14, 0x7fff
                                        ; implicit-def: $vgpr13
; %bb.263:                              ;   in Loop: Header=BB7_249 Depth=1
	s_and_not1_saveexec_b32 s1, s1
	s_cbranch_execz .LBB7_248
; %bb.264:                              ;   in Loop: Header=BB7_249 Depth=1
	v_and_b32_e32 v14, 0xffff, v13
	v_or_b32_e32 v15, 0x10000, v13
	s_delay_alu instid0(VALU_DEP_2) | instskip(NEXT) | instid1(VALU_DEP_2)
	v_cmp_eq_u32_e32 vcc_lo, 0, v14
	v_cndmask_b32_e32 v14, v15, v13, vcc_lo
	s_branch .LBB7_248
.LBB7_265:
	s_or_b32 exec_lo, exec_lo, s0
	s_or_b32 s0, s12, 6
	s_delay_alu instid0(SALU_CYCLE_1)
	s_cmp_ge_i32 s0, s8
	s_cbranch_scc1 .LBB7_55
.LBB7_266:
	scratch_load_b32 v1, off, off offset:96
	s_waitcnt vmcnt(0)
	v_and_b32_e32 v0, 0x7f800000, v1
	s_delay_alu instid0(VALU_DEP_1) | instskip(SKIP_1) | instid1(SALU_CYCLE_1)
	v_cmp_ne_u32_e32 vcc_lo, 0x7f800000, v0
                                        ; implicit-def: $vgpr0
	s_and_saveexec_b32 s1, vcc_lo
	s_xor_b32 s1, exec_lo, s1
; %bb.267:
	v_bfe_u32 v0, v1, 16, 1
	s_delay_alu instid0(VALU_DEP_1)
	v_add3_u32 v0, v1, v0, 0x7fff
                                        ; implicit-def: $vgpr1
; %bb.268:
	s_and_not1_saveexec_b32 s1, s1
; %bb.269:
	v_and_b32_e32 v0, 0xffff, v1
	v_or_b32_e32 v2, 0x10000, v1
	s_delay_alu instid0(VALU_DEP_2) | instskip(NEXT) | instid1(VALU_DEP_2)
	v_cmp_eq_u32_e32 vcc_lo, 0, v0
	v_cndmask_b32_e32 v0, v2, v1, vcc_lo
; %bb.270:
	s_or_b32 exec_lo, exec_lo, s1
	scratch_load_b32 v2, off, off offset:100
	s_waitcnt vmcnt(0)
	v_and_b32_e32 v1, 0x7f800000, v2
	s_delay_alu instid0(VALU_DEP_1) | instskip(SKIP_1) | instid1(SALU_CYCLE_1)
	v_cmp_ne_u32_e32 vcc_lo, 0x7f800000, v1
                                        ; implicit-def: $vgpr1
	s_and_saveexec_b32 s1, vcc_lo
	s_xor_b32 s1, exec_lo, s1
; %bb.271:
	v_bfe_u32 v1, v2, 16, 1
	s_delay_alu instid0(VALU_DEP_1)
	v_add3_u32 v1, v2, v1, 0x7fff
                                        ; implicit-def: $vgpr2
; %bb.272:
	s_and_not1_saveexec_b32 s1, s1
; %bb.273:
	v_and_b32_e32 v1, 0xffff, v2
	v_or_b32_e32 v3, 0x10000, v2
	s_delay_alu instid0(VALU_DEP_2) | instskip(NEXT) | instid1(VALU_DEP_2)
	v_cmp_eq_u32_e32 vcc_lo, 0, v1
	v_cndmask_b32_e32 v1, v3, v2, vcc_lo
; %bb.274:
	s_or_b32 exec_lo, exec_lo, s1
	scratch_load_b32 v2, off, off offset:104
	s_mov_b32 s1, exec_lo
                                        ; implicit-def: $vgpr8
	s_waitcnt vmcnt(0)
	v_and_b32_e32 v3, 0x7f800000, v2
	s_delay_alu instid0(VALU_DEP_1)
	v_cmpx_ne_u32_e32 0x7f800000, v3
	s_xor_b32 s1, exec_lo, s1
; %bb.275:
	v_bfe_u32 v3, v2, 16, 1
	s_delay_alu instid0(VALU_DEP_1)
	v_add3_u32 v8, v2, v3, 0x7fff
                                        ; implicit-def: $vgpr2
; %bb.276:
	s_and_not1_saveexec_b32 s1, s1
; %bb.277:
	v_and_b32_e32 v3, 0xffff, v2
	v_or_b32_e32 v4, 0x10000, v2
	s_delay_alu instid0(VALU_DEP_2) | instskip(NEXT) | instid1(VALU_DEP_2)
	v_cmp_eq_u32_e32 vcc_lo, 0, v3
	v_cndmask_b32_e32 v8, v4, v2, vcc_lo
; %bb.278:
	s_or_b32 exec_lo, exec_lo, s1
	scratch_load_b32 v2, off, off offset:108
	s_mov_b32 s1, exec_lo
                                        ; implicit-def: $vgpr11
	s_waitcnt vmcnt(0)
	v_and_b32_e32 v3, 0x7f800000, v2
	s_delay_alu instid0(VALU_DEP_1)
	v_cmpx_ne_u32_e32 0x7f800000, v3
	s_xor_b32 s1, exec_lo, s1
; %bb.279:
	v_bfe_u32 v3, v2, 16, 1
	s_delay_alu instid0(VALU_DEP_1)
	v_add3_u32 v11, v2, v3, 0x7fff
                                        ; implicit-def: $vgpr2
; %bb.280:
	s_and_not1_saveexec_b32 s1, s1
; %bb.281:
	v_and_b32_e32 v3, 0xffff, v2
	v_or_b32_e32 v4, 0x10000, v2
	s_delay_alu instid0(VALU_DEP_2) | instskip(NEXT) | instid1(VALU_DEP_2)
	v_cmp_eq_u32_e32 vcc_lo, 0, v3
	v_cndmask_b32_e32 v11, v4, v2, vcc_lo
; %bb.282:
	s_or_b32 exec_lo, exec_lo, s1
	s_mul_i32 s0, s0, s9
	v_and_b32_e32 v8, 0xffff0000, v8
	s_ashr_i32 s1, s0, 31
	v_and_b32_e32 v9, 0xffff0000, v1
	s_lshl_b64 s[0:1], s[0:1], 1
	v_and_b32_e32 v10, 0xffff0000, v0
	v_add_co_u32 v4, vcc_lo, v6, s0
	v_add_co_ci_u32_e32 v5, vcc_lo, s1, v7, vcc_lo
	v_and_b32_e32 v11, 0xffff0000, v11
	s_mov_b32 s0, 0
	global_load_b64 v[2:3], v[4:5], off
	s_branch .LBB7_284
.LBB7_283:                              ;   in Loop: Header=BB7_284 Depth=1
	s_or_b32 exec_lo, exec_lo, s1
	v_lshrrev_b32_e32 v1, 16, v1
	s_delay_alu instid0(VALU_DEP_2) | instskip(SKIP_1) | instid1(VALU_DEP_2)
	v_and_b32_e32 v13, 0xffff0000, v14
	v_lshrrev_b32_e32 v0, 16, v0
	v_or_b32_e32 v1, v13, v1
	s_delay_alu instid0(VALU_DEP_2)
	v_and_or_b32 v0, 0xffff0000, v12, v0
	global_atomic_cmpswap_b64 v[0:1], v[4:5], v[0:3], off glc
	s_waitcnt vmcnt(0)
	v_cmp_eq_u64_e32 vcc_lo, v[0:1], v[2:3]
	v_dual_mov_b32 v3, v1 :: v_dual_mov_b32 v2, v0
	s_or_b32 s0, vcc_lo, s0
	s_delay_alu instid0(SALU_CYCLE_1)
	s_and_not1_b32 exec_lo, exec_lo, s0
	s_cbranch_execz .LBB7_300
.LBB7_284:                              ; =>This Inner Loop Header: Depth=1
	s_waitcnt vmcnt(0)
	v_lshlrev_b32_e32 v0, 16, v2
	s_delay_alu instid0(VALU_DEP_1) | instskip(NEXT) | instid1(VALU_DEP_1)
	v_add_f32_e32 v1, v10, v0
	v_and_b32_e32 v0, 0x7f800000, v1
	s_delay_alu instid0(VALU_DEP_1) | instskip(SKIP_1) | instid1(SALU_CYCLE_1)
	v_cmp_ne_u32_e32 vcc_lo, 0x7f800000, v0
                                        ; implicit-def: $vgpr0
	s_and_saveexec_b32 s1, vcc_lo
	s_xor_b32 s1, exec_lo, s1
; %bb.285:                              ;   in Loop: Header=BB7_284 Depth=1
	v_bfe_u32 v0, v1, 16, 1
	s_delay_alu instid0(VALU_DEP_1)
	v_add3_u32 v0, v1, v0, 0x7fff
                                        ; implicit-def: $vgpr1
; %bb.286:                              ;   in Loop: Header=BB7_284 Depth=1
	s_and_not1_saveexec_b32 s1, s1
; %bb.287:                              ;   in Loop: Header=BB7_284 Depth=1
	v_and_b32_e32 v0, 0xffff, v1
	v_or_b32_e32 v12, 0x10000, v1
	s_delay_alu instid0(VALU_DEP_2) | instskip(NEXT) | instid1(VALU_DEP_2)
	v_cmp_eq_u32_e32 vcc_lo, 0, v0
	v_cndmask_b32_e32 v0, v12, v1, vcc_lo
; %bb.288:                              ;   in Loop: Header=BB7_284 Depth=1
	s_or_b32 exec_lo, exec_lo, s1
	v_and_b32_e32 v1, 0xffff0000, v2
	s_delay_alu instid0(VALU_DEP_1) | instskip(NEXT) | instid1(VALU_DEP_1)
	v_add_f32_e32 v1, v9, v1
	v_and_b32_e32 v12, 0x7f800000, v1
	s_delay_alu instid0(VALU_DEP_1) | instskip(SKIP_1) | instid1(SALU_CYCLE_1)
	v_cmp_ne_u32_e32 vcc_lo, 0x7f800000, v12
                                        ; implicit-def: $vgpr12
	s_and_saveexec_b32 s1, vcc_lo
	s_xor_b32 s1, exec_lo, s1
; %bb.289:                              ;   in Loop: Header=BB7_284 Depth=1
	v_bfe_u32 v12, v1, 16, 1
	s_delay_alu instid0(VALU_DEP_1)
	v_add3_u32 v12, v1, v12, 0x7fff
                                        ; implicit-def: $vgpr1
; %bb.290:                              ;   in Loop: Header=BB7_284 Depth=1
	s_and_not1_saveexec_b32 s1, s1
; %bb.291:                              ;   in Loop: Header=BB7_284 Depth=1
	v_and_b32_e32 v12, 0xffff, v1
	v_or_b32_e32 v13, 0x10000, v1
	s_delay_alu instid0(VALU_DEP_2) | instskip(NEXT) | instid1(VALU_DEP_2)
	v_cmp_eq_u32_e32 vcc_lo, 0, v12
	v_cndmask_b32_e32 v12, v13, v1, vcc_lo
; %bb.292:                              ;   in Loop: Header=BB7_284 Depth=1
	s_or_b32 exec_lo, exec_lo, s1
	v_alignbit_b32 v1, v3, v2, 16
	s_delay_alu instid0(VALU_DEP_1) | instskip(NEXT) | instid1(VALU_DEP_1)
	v_and_b32_e32 v1, 0xffff0000, v1
	v_add_f32_e32 v13, v8, v1
	s_delay_alu instid0(VALU_DEP_1) | instskip(NEXT) | instid1(VALU_DEP_1)
	v_and_b32_e32 v1, 0x7f800000, v13
	v_cmp_ne_u32_e32 vcc_lo, 0x7f800000, v1
                                        ; implicit-def: $vgpr1
	s_and_saveexec_b32 s1, vcc_lo
	s_delay_alu instid0(SALU_CYCLE_1)
	s_xor_b32 s1, exec_lo, s1
; %bb.293:                              ;   in Loop: Header=BB7_284 Depth=1
	v_bfe_u32 v1, v13, 16, 1
	s_delay_alu instid0(VALU_DEP_1)
	v_add3_u32 v1, v13, v1, 0x7fff
                                        ; implicit-def: $vgpr13
; %bb.294:                              ;   in Loop: Header=BB7_284 Depth=1
	s_and_not1_saveexec_b32 s1, s1
; %bb.295:                              ;   in Loop: Header=BB7_284 Depth=1
	v_and_b32_e32 v1, 0xffff, v13
	v_or_b32_e32 v14, 0x10000, v13
	s_delay_alu instid0(VALU_DEP_2) | instskip(NEXT) | instid1(VALU_DEP_2)
	v_cmp_eq_u32_e32 vcc_lo, 0, v1
	v_cndmask_b32_e32 v1, v14, v13, vcc_lo
; %bb.296:                              ;   in Loop: Header=BB7_284 Depth=1
	s_or_b32 exec_lo, exec_lo, s1
	v_and_b32_e32 v13, 0xffff0000, v3
	s_delay_alu instid0(VALU_DEP_1) | instskip(NEXT) | instid1(VALU_DEP_1)
	v_add_f32_e32 v13, v11, v13
	v_and_b32_e32 v14, 0x7f800000, v13
	s_delay_alu instid0(VALU_DEP_1) | instskip(SKIP_1) | instid1(SALU_CYCLE_1)
	v_cmp_ne_u32_e32 vcc_lo, 0x7f800000, v14
                                        ; implicit-def: $vgpr14
	s_and_saveexec_b32 s1, vcc_lo
	s_xor_b32 s1, exec_lo, s1
; %bb.297:                              ;   in Loop: Header=BB7_284 Depth=1
	v_bfe_u32 v14, v13, 16, 1
	s_delay_alu instid0(VALU_DEP_1)
	v_add3_u32 v14, v13, v14, 0x7fff
                                        ; implicit-def: $vgpr13
; %bb.298:                              ;   in Loop: Header=BB7_284 Depth=1
	s_and_not1_saveexec_b32 s1, s1
	s_cbranch_execz .LBB7_283
; %bb.299:                              ;   in Loop: Header=BB7_284 Depth=1
	v_and_b32_e32 v14, 0xffff, v13
	v_or_b32_e32 v15, 0x10000, v13
	s_delay_alu instid0(VALU_DEP_2) | instskip(NEXT) | instid1(VALU_DEP_2)
	v_cmp_eq_u32_e32 vcc_lo, 0, v14
	v_cndmask_b32_e32 v14, v15, v13, vcc_lo
	s_branch .LBB7_283
.LBB7_300:
	s_or_b32 exec_lo, exec_lo, s0
	s_or_b32 s0, s12, 7
	s_delay_alu instid0(SALU_CYCLE_1)
	s_cmp_ge_i32 s0, s8
	s_cbranch_scc1 .LBB7_335
.LBB7_301:
	scratch_load_b32 v1, off, off offset:112
	s_waitcnt vmcnt(0)
	v_and_b32_e32 v0, 0x7f800000, v1
	s_delay_alu instid0(VALU_DEP_1) | instskip(SKIP_1) | instid1(SALU_CYCLE_1)
	v_cmp_ne_u32_e32 vcc_lo, 0x7f800000, v0
                                        ; implicit-def: $vgpr0
	s_and_saveexec_b32 s1, vcc_lo
	s_xor_b32 s1, exec_lo, s1
; %bb.302:
	v_bfe_u32 v0, v1, 16, 1
	s_delay_alu instid0(VALU_DEP_1)
	v_add3_u32 v0, v1, v0, 0x7fff
                                        ; implicit-def: $vgpr1
; %bb.303:
	s_and_not1_saveexec_b32 s1, s1
; %bb.304:
	v_and_b32_e32 v0, 0xffff, v1
	v_or_b32_e32 v2, 0x10000, v1
	s_delay_alu instid0(VALU_DEP_2) | instskip(NEXT) | instid1(VALU_DEP_2)
	v_cmp_eq_u32_e32 vcc_lo, 0, v0
	v_cndmask_b32_e32 v0, v2, v1, vcc_lo
; %bb.305:
	s_or_b32 exec_lo, exec_lo, s1
	scratch_load_b32 v2, off, off offset:116
	s_waitcnt vmcnt(0)
	v_and_b32_e32 v1, 0x7f800000, v2
	s_delay_alu instid0(VALU_DEP_1) | instskip(SKIP_1) | instid1(SALU_CYCLE_1)
	v_cmp_ne_u32_e32 vcc_lo, 0x7f800000, v1
                                        ; implicit-def: $vgpr1
	s_and_saveexec_b32 s1, vcc_lo
	s_xor_b32 s1, exec_lo, s1
; %bb.306:
	v_bfe_u32 v1, v2, 16, 1
	s_delay_alu instid0(VALU_DEP_1)
	v_add3_u32 v1, v2, v1, 0x7fff
                                        ; implicit-def: $vgpr2
; %bb.307:
	s_and_not1_saveexec_b32 s1, s1
; %bb.308:
	v_and_b32_e32 v1, 0xffff, v2
	v_or_b32_e32 v3, 0x10000, v2
	s_delay_alu instid0(VALU_DEP_2) | instskip(NEXT) | instid1(VALU_DEP_2)
	v_cmp_eq_u32_e32 vcc_lo, 0, v1
	v_cndmask_b32_e32 v1, v3, v2, vcc_lo
; %bb.309:
	s_or_b32 exec_lo, exec_lo, s1
	scratch_load_b32 v2, off, off offset:120
	s_mov_b32 s1, exec_lo
                                        ; implicit-def: $vgpr8
	s_waitcnt vmcnt(0)
	v_and_b32_e32 v3, 0x7f800000, v2
	s_delay_alu instid0(VALU_DEP_1)
	v_cmpx_ne_u32_e32 0x7f800000, v3
	s_xor_b32 s1, exec_lo, s1
; %bb.310:
	v_bfe_u32 v3, v2, 16, 1
	s_delay_alu instid0(VALU_DEP_1)
	v_add3_u32 v8, v2, v3, 0x7fff
                                        ; implicit-def: $vgpr2
; %bb.311:
	s_and_not1_saveexec_b32 s1, s1
; %bb.312:
	v_and_b32_e32 v3, 0xffff, v2
	v_or_b32_e32 v4, 0x10000, v2
	s_delay_alu instid0(VALU_DEP_2) | instskip(NEXT) | instid1(VALU_DEP_2)
	v_cmp_eq_u32_e32 vcc_lo, 0, v3
	v_cndmask_b32_e32 v8, v4, v2, vcc_lo
; %bb.313:
	s_or_b32 exec_lo, exec_lo, s1
	scratch_load_b32 v2, off, off offset:124
	s_mov_b32 s1, exec_lo
                                        ; implicit-def: $vgpr9
	s_waitcnt vmcnt(0)
	v_and_b32_e32 v3, 0x7f800000, v2
	s_delay_alu instid0(VALU_DEP_1)
	v_cmpx_ne_u32_e32 0x7f800000, v3
	s_xor_b32 s1, exec_lo, s1
; %bb.314:
	v_bfe_u32 v3, v2, 16, 1
	s_delay_alu instid0(VALU_DEP_1)
	v_add3_u32 v9, v2, v3, 0x7fff
                                        ; implicit-def: $vgpr2
; %bb.315:
	s_and_not1_saveexec_b32 s1, s1
; %bb.316:
	v_and_b32_e32 v3, 0xffff, v2
	v_or_b32_e32 v4, 0x10000, v2
	s_delay_alu instid0(VALU_DEP_2) | instskip(NEXT) | instid1(VALU_DEP_2)
	v_cmp_eq_u32_e32 vcc_lo, 0, v3
	v_cndmask_b32_e32 v9, v4, v2, vcc_lo
; %bb.317:
	s_or_b32 exec_lo, exec_lo, s1
	s_mul_i32 s0, s0, s9
	s_delay_alu instid0(VALU_DEP_1) | instskip(SKIP_1) | instid1(SALU_CYCLE_1)
	v_and_b32_e32 v9, 0xffff0000, v9
	s_ashr_i32 s1, s0, 31
	s_lshl_b64 s[0:1], s[0:1], 1
	s_delay_alu instid0(SALU_CYCLE_1)
	v_add_co_u32 v4, vcc_lo, v6, s0
	v_add_co_ci_u32_e32 v5, vcc_lo, s1, v7, vcc_lo
	v_and_b32_e32 v6, 0xffff0000, v8
	v_and_b32_e32 v7, 0xffff0000, v1
	;; [unrolled: 1-line block ×3, first 2 shown]
	global_load_b64 v[2:3], v[4:5], off
	s_mov_b32 s0, 0
	s_branch .LBB7_319
.LBB7_318:                              ;   in Loop: Header=BB7_319 Depth=1
	s_or_b32 exec_lo, exec_lo, s1
	v_lshrrev_b32_e32 v1, 16, v1
	s_delay_alu instid0(VALU_DEP_2) | instskip(SKIP_1) | instid1(VALU_DEP_2)
	v_and_b32_e32 v11, 0xffff0000, v12
	v_lshrrev_b32_e32 v0, 16, v0
	v_or_b32_e32 v1, v11, v1
	s_delay_alu instid0(VALU_DEP_2)
	v_and_or_b32 v0, 0xffff0000, v10, v0
	global_atomic_cmpswap_b64 v[0:1], v[4:5], v[0:3], off glc
	s_waitcnt vmcnt(0)
	v_cmp_eq_u64_e32 vcc_lo, v[0:1], v[2:3]
	v_dual_mov_b32 v3, v1 :: v_dual_mov_b32 v2, v0
	s_or_b32 s0, vcc_lo, s0
	s_delay_alu instid0(SALU_CYCLE_1)
	s_and_not1_b32 exec_lo, exec_lo, s0
	s_cbranch_execz .LBB7_335
.LBB7_319:                              ; =>This Inner Loop Header: Depth=1
	s_waitcnt vmcnt(0)
	v_lshlrev_b32_e32 v0, 16, v2
	s_delay_alu instid0(VALU_DEP_1) | instskip(NEXT) | instid1(VALU_DEP_1)
	v_add_f32_e32 v1, v8, v0
	v_and_b32_e32 v0, 0x7f800000, v1
	s_delay_alu instid0(VALU_DEP_1) | instskip(SKIP_1) | instid1(SALU_CYCLE_1)
	v_cmp_ne_u32_e32 vcc_lo, 0x7f800000, v0
                                        ; implicit-def: $vgpr0
	s_and_saveexec_b32 s1, vcc_lo
	s_xor_b32 s1, exec_lo, s1
; %bb.320:                              ;   in Loop: Header=BB7_319 Depth=1
	v_bfe_u32 v0, v1, 16, 1
	s_delay_alu instid0(VALU_DEP_1)
	v_add3_u32 v0, v1, v0, 0x7fff
                                        ; implicit-def: $vgpr1
; %bb.321:                              ;   in Loop: Header=BB7_319 Depth=1
	s_and_not1_saveexec_b32 s1, s1
; %bb.322:                              ;   in Loop: Header=BB7_319 Depth=1
	v_and_b32_e32 v0, 0xffff, v1
	v_or_b32_e32 v10, 0x10000, v1
	s_delay_alu instid0(VALU_DEP_2) | instskip(NEXT) | instid1(VALU_DEP_2)
	v_cmp_eq_u32_e32 vcc_lo, 0, v0
	v_cndmask_b32_e32 v0, v10, v1, vcc_lo
; %bb.323:                              ;   in Loop: Header=BB7_319 Depth=1
	s_or_b32 exec_lo, exec_lo, s1
	v_and_b32_e32 v1, 0xffff0000, v2
	s_delay_alu instid0(VALU_DEP_1) | instskip(NEXT) | instid1(VALU_DEP_1)
	v_add_f32_e32 v1, v7, v1
	v_and_b32_e32 v10, 0x7f800000, v1
	s_delay_alu instid0(VALU_DEP_1) | instskip(SKIP_1) | instid1(SALU_CYCLE_1)
	v_cmp_ne_u32_e32 vcc_lo, 0x7f800000, v10
                                        ; implicit-def: $vgpr10
	s_and_saveexec_b32 s1, vcc_lo
	s_xor_b32 s1, exec_lo, s1
; %bb.324:                              ;   in Loop: Header=BB7_319 Depth=1
	v_bfe_u32 v10, v1, 16, 1
	s_delay_alu instid0(VALU_DEP_1)
	v_add3_u32 v10, v1, v10, 0x7fff
                                        ; implicit-def: $vgpr1
; %bb.325:                              ;   in Loop: Header=BB7_319 Depth=1
	s_and_not1_saveexec_b32 s1, s1
; %bb.326:                              ;   in Loop: Header=BB7_319 Depth=1
	v_and_b32_e32 v10, 0xffff, v1
	v_or_b32_e32 v11, 0x10000, v1
	s_delay_alu instid0(VALU_DEP_2) | instskip(NEXT) | instid1(VALU_DEP_2)
	v_cmp_eq_u32_e32 vcc_lo, 0, v10
	v_cndmask_b32_e32 v10, v11, v1, vcc_lo
; %bb.327:                              ;   in Loop: Header=BB7_319 Depth=1
	s_or_b32 exec_lo, exec_lo, s1
	v_alignbit_b32 v1, v3, v2, 16
	s_delay_alu instid0(VALU_DEP_1) | instskip(NEXT) | instid1(VALU_DEP_1)
	v_and_b32_e32 v1, 0xffff0000, v1
	v_add_f32_e32 v11, v6, v1
	s_delay_alu instid0(VALU_DEP_1) | instskip(NEXT) | instid1(VALU_DEP_1)
	v_and_b32_e32 v1, 0x7f800000, v11
	v_cmp_ne_u32_e32 vcc_lo, 0x7f800000, v1
                                        ; implicit-def: $vgpr1
	s_and_saveexec_b32 s1, vcc_lo
	s_delay_alu instid0(SALU_CYCLE_1)
	s_xor_b32 s1, exec_lo, s1
; %bb.328:                              ;   in Loop: Header=BB7_319 Depth=1
	v_bfe_u32 v1, v11, 16, 1
	s_delay_alu instid0(VALU_DEP_1)
	v_add3_u32 v1, v11, v1, 0x7fff
                                        ; implicit-def: $vgpr11
; %bb.329:                              ;   in Loop: Header=BB7_319 Depth=1
	s_and_not1_saveexec_b32 s1, s1
; %bb.330:                              ;   in Loop: Header=BB7_319 Depth=1
	v_and_b32_e32 v1, 0xffff, v11
	v_or_b32_e32 v12, 0x10000, v11
	s_delay_alu instid0(VALU_DEP_2) | instskip(NEXT) | instid1(VALU_DEP_2)
	v_cmp_eq_u32_e32 vcc_lo, 0, v1
	v_cndmask_b32_e32 v1, v12, v11, vcc_lo
; %bb.331:                              ;   in Loop: Header=BB7_319 Depth=1
	s_or_b32 exec_lo, exec_lo, s1
	v_and_b32_e32 v11, 0xffff0000, v3
	s_delay_alu instid0(VALU_DEP_1) | instskip(NEXT) | instid1(VALU_DEP_1)
	v_add_f32_e32 v11, v9, v11
	v_and_b32_e32 v12, 0x7f800000, v11
	s_delay_alu instid0(VALU_DEP_1) | instskip(SKIP_1) | instid1(SALU_CYCLE_1)
	v_cmp_ne_u32_e32 vcc_lo, 0x7f800000, v12
                                        ; implicit-def: $vgpr12
	s_and_saveexec_b32 s1, vcc_lo
	s_xor_b32 s1, exec_lo, s1
; %bb.332:                              ;   in Loop: Header=BB7_319 Depth=1
	v_bfe_u32 v12, v11, 16, 1
	s_delay_alu instid0(VALU_DEP_1)
	v_add3_u32 v12, v11, v12, 0x7fff
                                        ; implicit-def: $vgpr11
; %bb.333:                              ;   in Loop: Header=BB7_319 Depth=1
	s_and_not1_saveexec_b32 s1, s1
	s_cbranch_execz .LBB7_318
; %bb.334:                              ;   in Loop: Header=BB7_319 Depth=1
	v_and_b32_e32 v12, 0xffff, v11
	v_or_b32_e32 v13, 0x10000, v11
	s_delay_alu instid0(VALU_DEP_2) | instskip(NEXT) | instid1(VALU_DEP_2)
	v_cmp_eq_u32_e32 vcc_lo, 0, v12
	v_cndmask_b32_e32 v12, v13, v11, vcc_lo
	s_branch .LBB7_318
.LBB7_335:
	s_endpgm
	.section	.rodata,"a",@progbits
	.p2align	6, 0x0
	.amdhsa_kernel _ZN4vllm10gptq_rdna320gemm_q4_kernel_rdna3I14__hip_bfloat16Li8EEEvPKT_PKjS7_S5_PS3_iiiiiPKi
		.amdhsa_group_segment_fixed_size 20608
		.amdhsa_private_segment_fixed_size 144
		.amdhsa_kernarg_size 72
		.amdhsa_user_sgpr_count 13
		.amdhsa_user_sgpr_dispatch_ptr 1
		.amdhsa_user_sgpr_queue_ptr 0
		.amdhsa_user_sgpr_kernarg_segment_ptr 1
		.amdhsa_user_sgpr_dispatch_id 0
		.amdhsa_user_sgpr_private_segment_size 0
		.amdhsa_wavefront_size32 1
		.amdhsa_uses_dynamic_stack 0
		.amdhsa_enable_private_segment 1
		.amdhsa_system_sgpr_workgroup_id_x 1
		.amdhsa_system_sgpr_workgroup_id_y 1
		.amdhsa_system_sgpr_workgroup_id_z 1
		.amdhsa_system_sgpr_workgroup_info 0
		.amdhsa_system_vgpr_workitem_id 2
		.amdhsa_next_free_vgpr 82
		.amdhsa_next_free_sgpr 31
		.amdhsa_reserve_vcc 1
		.amdhsa_float_round_mode_32 0
		.amdhsa_float_round_mode_16_64 0
		.amdhsa_float_denorm_mode_32 3
		.amdhsa_float_denorm_mode_16_64 3
		.amdhsa_dx10_clamp 1
		.amdhsa_ieee_mode 1
		.amdhsa_fp16_overflow 0
		.amdhsa_workgroup_processor_mode 1
		.amdhsa_memory_ordered 1
		.amdhsa_forward_progress 0
		.amdhsa_shared_vgpr_count 0
		.amdhsa_exception_fp_ieee_invalid_op 0
		.amdhsa_exception_fp_denorm_src 0
		.amdhsa_exception_fp_ieee_div_zero 0
		.amdhsa_exception_fp_ieee_overflow 0
		.amdhsa_exception_fp_ieee_underflow 0
		.amdhsa_exception_fp_ieee_inexact 0
		.amdhsa_exception_int_div_zero 0
	.end_amdhsa_kernel
	.section	.text._ZN4vllm10gptq_rdna320gemm_q4_kernel_rdna3I14__hip_bfloat16Li8EEEvPKT_PKjS7_S5_PS3_iiiiiPKi,"axG",@progbits,_ZN4vllm10gptq_rdna320gemm_q4_kernel_rdna3I14__hip_bfloat16Li8EEEvPKT_PKjS7_S5_PS3_iiiiiPKi,comdat
.Lfunc_end7:
	.size	_ZN4vllm10gptq_rdna320gemm_q4_kernel_rdna3I14__hip_bfloat16Li8EEEvPKT_PKjS7_S5_PS3_iiiiiPKi, .Lfunc_end7-_ZN4vllm10gptq_rdna320gemm_q4_kernel_rdna3I14__hip_bfloat16Li8EEEvPKT_PKjS7_S5_PS3_iiiiiPKi
                                        ; -- End function
	.section	.AMDGPU.csdata,"",@progbits
; Kernel info:
; codeLenInByte = 15384
; NumSgprs: 33
; NumVgprs: 82
; ScratchSize: 144
; MemoryBound: 0
; FloatMode: 240
; IeeeMode: 1
; LDSByteSize: 20608 bytes/workgroup (compile time only)
; SGPRBlocks: 4
; VGPRBlocks: 10
; NumSGPRsForWavesPerEU: 33
; NumVGPRsForWavesPerEU: 82
; Occupancy: 16
; WaveLimiterHint : 0
; COMPUTE_PGM_RSRC2:SCRATCH_EN: 1
; COMPUTE_PGM_RSRC2:USER_SGPR: 13
; COMPUTE_PGM_RSRC2:TRAP_HANDLER: 0
; COMPUTE_PGM_RSRC2:TGID_X_EN: 1
; COMPUTE_PGM_RSRC2:TGID_Y_EN: 1
; COMPUTE_PGM_RSRC2:TGID_Z_EN: 1
; COMPUTE_PGM_RSRC2:TIDIG_COMP_CNT: 2
	.text
	.p2alignl 7, 3214868480
	.fill 96, 4, 3214868480
	.type	__hip_cuid_53573aac7dce1239,@object ; @__hip_cuid_53573aac7dce1239
	.section	.bss,"aw",@nobits
	.globl	__hip_cuid_53573aac7dce1239
__hip_cuid_53573aac7dce1239:
	.byte	0                               ; 0x0
	.size	__hip_cuid_53573aac7dce1239, 1

	.ident	"AMD clang version 19.0.0git (https://github.com/RadeonOpenCompute/llvm-project roc-6.4.0 25133 c7fe45cf4b819c5991fe208aaa96edf142730f1d)"
	.section	".note.GNU-stack","",@progbits
	.addrsig
	.addrsig_sym __hip_cuid_53573aac7dce1239
	.amdgpu_metadata
---
amdhsa.kernels:
  - .args:
      - .actual_access:  read_only
        .address_space:  global
        .offset:         0
        .size:           8
        .value_kind:     global_buffer
      - .actual_access:  read_only
        .address_space:  global
        .offset:         8
        .size:           8
        .value_kind:     global_buffer
      - .actual_access:  read_only
        .address_space:  global
        .offset:         16
        .size:           8
        .value_kind:     global_buffer
      - .actual_access:  read_only
        .address_space:  global
        .offset:         24
        .size:           8
        .value_kind:     global_buffer
      - .address_space:  global
        .offset:         32
        .size:           8
        .value_kind:     global_buffer
      - .offset:         40
        .size:           4
        .value_kind:     by_value
      - .offset:         44
        .size:           4
        .value_kind:     by_value
      - .offset:         48
        .size:           4
        .value_kind:     by_value
      - .offset:         52
        .size:           4
        .value_kind:     by_value
      - .offset:         56
        .size:           4
        .value_kind:     by_value
      - .actual_access:  read_only
        .address_space:  global
        .offset:         64
        .size:           8
        .value_kind:     global_buffer
    .group_segment_fixed_size: 528
    .kernarg_segment_align: 8
    .kernarg_segment_size: 72
    .language:       OpenCL C
    .language_version:
      - 2
      - 0
    .max_flat_workgroup_size: 1024
    .name:           _ZN4vllm10gptq_rdna320gemm_q4_kernel_rdna3I6__halfLi1EEEvPKT_PKjS7_S5_PS3_iiiiiPKi
    .private_segment_fixed_size: 0
    .sgpr_count:     26
    .sgpr_spill_count: 0
    .symbol:         _ZN4vllm10gptq_rdna320gemm_q4_kernel_rdna3I6__halfLi1EEEvPKT_PKjS7_S5_PS3_iiiiiPKi.kd
    .uniform_work_group_size: 1
    .uses_dynamic_stack: false
    .vgpr_count:     74
    .vgpr_spill_count: 0
    .wavefront_size: 32
    .workgroup_processor_mode: 1
  - .args:
      - .actual_access:  read_only
        .address_space:  global
        .offset:         0
        .size:           8
        .value_kind:     global_buffer
      - .actual_access:  read_only
        .address_space:  global
        .offset:         8
        .size:           8
        .value_kind:     global_buffer
      - .actual_access:  read_only
        .address_space:  global
        .offset:         16
        .size:           8
        .value_kind:     global_buffer
      - .actual_access:  read_only
        .address_space:  global
        .offset:         24
        .size:           8
        .value_kind:     global_buffer
      - .address_space:  global
        .offset:         32
        .size:           8
        .value_kind:     global_buffer
      - .offset:         40
        .size:           4
        .value_kind:     by_value
      - .offset:         44
        .size:           4
        .value_kind:     by_value
      - .offset:         48
        .size:           4
        .value_kind:     by_value
      - .offset:         52
        .size:           4
        .value_kind:     by_value
      - .offset:         56
        .size:           4
        .value_kind:     by_value
      - .actual_access:  read_only
        .address_space:  global
        .offset:         64
        .size:           8
        .value_kind:     global_buffer
    .group_segment_fixed_size: 1056
    .kernarg_segment_align: 8
    .kernarg_segment_size: 72
    .language:       OpenCL C
    .language_version:
      - 2
      - 0
    .max_flat_workgroup_size: 1024
    .name:           _ZN4vllm10gptq_rdna320gemm_q4_kernel_rdna3I6__halfLi2EEEvPKT_PKjS7_S5_PS3_iiiiiPKi
    .private_segment_fixed_size: 0
    .sgpr_count:     26
    .sgpr_spill_count: 0
    .symbol:         _ZN4vllm10gptq_rdna320gemm_q4_kernel_rdna3I6__halfLi2EEEvPKT_PKjS7_S5_PS3_iiiiiPKi.kd
    .uniform_work_group_size: 1
    .uses_dynamic_stack: false
    .vgpr_count:     81
    .vgpr_spill_count: 0
    .wavefront_size: 32
    .workgroup_processor_mode: 1
  - .args:
      - .actual_access:  read_only
        .address_space:  global
        .offset:         0
        .size:           8
        .value_kind:     global_buffer
      - .actual_access:  read_only
        .address_space:  global
        .offset:         8
        .size:           8
        .value_kind:     global_buffer
      - .actual_access:  read_only
        .address_space:  global
        .offset:         16
        .size:           8
        .value_kind:     global_buffer
      - .actual_access:  read_only
        .address_space:  global
        .offset:         24
        .size:           8
        .value_kind:     global_buffer
      - .address_space:  global
        .offset:         32
        .size:           8
        .value_kind:     global_buffer
      - .offset:         40
        .size:           4
        .value_kind:     by_value
      - .offset:         44
        .size:           4
        .value_kind:     by_value
      - .offset:         48
        .size:           4
        .value_kind:     by_value
      - .offset:         52
        .size:           4
        .value_kind:     by_value
      - .offset:         56
        .size:           4
        .value_kind:     by_value
      - .actual_access:  read_only
        .address_space:  global
        .offset:         64
        .size:           8
        .value_kind:     global_buffer
    .group_segment_fixed_size: 2112
    .kernarg_segment_align: 8
    .kernarg_segment_size: 72
    .language:       OpenCL C
    .language_version:
      - 2
      - 0
    .max_flat_workgroup_size: 1024
    .name:           _ZN4vllm10gptq_rdna320gemm_q4_kernel_rdna3I6__halfLi4EEEvPKT_PKjS7_S5_PS3_iiiiiPKi
    .private_segment_fixed_size: 0
    .sgpr_count:     26
    .sgpr_spill_count: 0
    .symbol:         _ZN4vllm10gptq_rdna320gemm_q4_kernel_rdna3I6__halfLi4EEEvPKT_PKjS7_S5_PS3_iiiiiPKi.kd
    .uniform_work_group_size: 1
    .uses_dynamic_stack: false
    .vgpr_count:     93
    .vgpr_spill_count: 0
    .wavefront_size: 32
    .workgroup_processor_mode: 1
  - .args:
      - .actual_access:  read_only
        .address_space:  global
        .offset:         0
        .size:           8
        .value_kind:     global_buffer
      - .actual_access:  read_only
        .address_space:  global
        .offset:         8
        .size:           8
        .value_kind:     global_buffer
      - .actual_access:  read_only
        .address_space:  global
        .offset:         16
        .size:           8
        .value_kind:     global_buffer
      - .actual_access:  read_only
        .address_space:  global
        .offset:         24
        .size:           8
        .value_kind:     global_buffer
      - .address_space:  global
        .offset:         32
        .size:           8
        .value_kind:     global_buffer
      - .offset:         40
        .size:           4
        .value_kind:     by_value
      - .offset:         44
        .size:           4
        .value_kind:     by_value
      - .offset:         48
        .size:           4
        .value_kind:     by_value
      - .offset:         52
        .size:           4
        .value_kind:     by_value
      - .offset:         56
        .size:           4
        .value_kind:     by_value
      - .actual_access:  read_only
        .address_space:  global
        .offset:         64
        .size:           8
        .value_kind:     global_buffer
    .group_segment_fixed_size: 4224
    .kernarg_segment_align: 8
    .kernarg_segment_size: 72
    .language:       OpenCL C
    .language_version:
      - 2
      - 0
    .max_flat_workgroup_size: 1024
    .name:           _ZN4vllm10gptq_rdna320gemm_q4_kernel_rdna3I6__halfLi8EEEvPKT_PKjS7_S5_PS3_iiiiiPKi
    .private_segment_fixed_size: 0
    .sgpr_count:     26
    .sgpr_spill_count: 0
    .symbol:         _ZN4vllm10gptq_rdna320gemm_q4_kernel_rdna3I6__halfLi8EEEvPKT_PKjS7_S5_PS3_iiiiiPKi.kd
    .uniform_work_group_size: 1
    .uses_dynamic_stack: false
    .vgpr_count:     126
    .vgpr_spill_count: 0
    .wavefront_size: 32
    .workgroup_processor_mode: 1
  - .args:
      - .actual_access:  read_only
        .address_space:  global
        .offset:         0
        .size:           8
        .value_kind:     global_buffer
      - .actual_access:  read_only
        .address_space:  global
        .offset:         8
        .size:           8
        .value_kind:     global_buffer
      - .actual_access:  read_only
        .address_space:  global
        .offset:         16
        .size:           8
        .value_kind:     global_buffer
      - .actual_access:  read_only
        .address_space:  global
        .offset:         24
        .size:           8
        .value_kind:     global_buffer
      - .address_space:  global
        .offset:         32
        .size:           8
        .value_kind:     global_buffer
      - .offset:         40
        .size:           4
        .value_kind:     by_value
      - .offset:         44
        .size:           4
        .value_kind:     by_value
      - .offset:         48
        .size:           4
        .value_kind:     by_value
      - .offset:         52
        .size:           4
        .value_kind:     by_value
      - .offset:         56
        .size:           4
        .value_kind:     by_value
      - .actual_access:  read_only
        .address_space:  global
        .offset:         64
        .size:           8
        .value_kind:     global_buffer
    .group_segment_fixed_size: 33296
    .kernarg_segment_align: 8
    .kernarg_segment_size: 72
    .language:       OpenCL C
    .language_version:
      - 2
      - 0
    .max_flat_workgroup_size: 1024
    .name:           _ZN4vllm10gptq_rdna320gemm_q4_kernel_rdna3I14__hip_bfloat16Li1EEEvPKT_PKjS7_S5_PS3_iiiiiPKi
    .private_segment_fixed_size: 0
    .sgpr_count:     31
    .sgpr_spill_count: 0
    .symbol:         _ZN4vllm10gptq_rdna320gemm_q4_kernel_rdna3I14__hip_bfloat16Li1EEEvPKT_PKjS7_S5_PS3_iiiiiPKi.kd
    .uniform_work_group_size: 1
    .uses_dynamic_stack: false
    .vgpr_count:     35
    .vgpr_spill_count: 0
    .wavefront_size: 32
    .workgroup_processor_mode: 1
  - .args:
      - .actual_access:  read_only
        .address_space:  global
        .offset:         0
        .size:           8
        .value_kind:     global_buffer
      - .actual_access:  read_only
        .address_space:  global
        .offset:         8
        .size:           8
        .value_kind:     global_buffer
      - .actual_access:  read_only
        .address_space:  global
        .offset:         16
        .size:           8
        .value_kind:     global_buffer
      - .actual_access:  read_only
        .address_space:  global
        .offset:         24
        .size:           8
        .value_kind:     global_buffer
      - .address_space:  global
        .offset:         32
        .size:           8
        .value_kind:     global_buffer
      - .offset:         40
        .size:           4
        .value_kind:     by_value
      - .offset:         44
        .size:           4
        .value_kind:     by_value
      - .offset:         48
        .size:           4
        .value_kind:     by_value
      - .offset:         52
        .size:           4
        .value_kind:     by_value
      - .offset:         56
        .size:           4
        .value_kind:     by_value
      - .actual_access:  read_only
        .address_space:  global
        .offset:         64
        .size:           8
        .value_kind:     global_buffer
    .group_segment_fixed_size: 50208
    .kernarg_segment_align: 8
    .kernarg_segment_size: 72
    .language:       OpenCL C
    .language_version:
      - 2
      - 0
    .max_flat_workgroup_size: 1024
    .name:           _ZN4vllm10gptq_rdna320gemm_q4_kernel_rdna3I14__hip_bfloat16Li2EEEvPKT_PKjS7_S5_PS3_iiiiiPKi
    .private_segment_fixed_size: 0
    .sgpr_count:     30
    .sgpr_spill_count: 0
    .symbol:         _ZN4vllm10gptq_rdna320gemm_q4_kernel_rdna3I14__hip_bfloat16Li2EEEvPKT_PKjS7_S5_PS3_iiiiiPKi.kd
    .uniform_work_group_size: 1
    .uses_dynamic_stack: false
    .vgpr_count:     42
    .vgpr_spill_count: 0
    .wavefront_size: 32
    .workgroup_processor_mode: 1
  - .args:
      - .actual_access:  read_only
        .address_space:  global
        .offset:         0
        .size:           8
        .value_kind:     global_buffer
      - .actual_access:  read_only
        .address_space:  global
        .offset:         8
        .size:           8
        .value_kind:     global_buffer
      - .actual_access:  read_only
        .address_space:  global
        .offset:         16
        .size:           8
        .value_kind:     global_buffer
      - .actual_access:  read_only
        .address_space:  global
        .offset:         24
        .size:           8
        .value_kind:     global_buffer
      - .address_space:  global
        .offset:         32
        .size:           8
        .value_kind:     global_buffer
      - .offset:         40
        .size:           4
        .value_kind:     by_value
      - .offset:         44
        .size:           4
        .value_kind:     by_value
      - .offset:         48
        .size:           4
        .value_kind:     by_value
      - .offset:         52
        .size:           4
        .value_kind:     by_value
      - .offset:         56
        .size:           4
        .value_kind:     by_value
      - .actual_access:  read_only
        .address_space:  global
        .offset:         64
        .size:           8
        .value_kind:     global_buffer
    .group_segment_fixed_size: 18496
    .kernarg_segment_align: 8
    .kernarg_segment_size: 72
    .language:       OpenCL C
    .language_version:
      - 2
      - 0
    .max_flat_workgroup_size: 1024
    .name:           _ZN4vllm10gptq_rdna320gemm_q4_kernel_rdna3I14__hip_bfloat16Li4EEEvPKT_PKjS7_S5_PS3_iiiiiPKi
    .private_segment_fixed_size: 80
    .sgpr_count:     30
    .sgpr_spill_count: 0
    .symbol:         _ZN4vllm10gptq_rdna320gemm_q4_kernel_rdna3I14__hip_bfloat16Li4EEEvPKT_PKjS7_S5_PS3_iiiiiPKi.kd
    .uniform_work_group_size: 1
    .uses_dynamic_stack: false
    .vgpr_count:     54
    .vgpr_spill_count: 0
    .wavefront_size: 32
    .workgroup_processor_mode: 1
  - .args:
      - .actual_access:  read_only
        .address_space:  global
        .offset:         0
        .size:           8
        .value_kind:     global_buffer
      - .actual_access:  read_only
        .address_space:  global
        .offset:         8
        .size:           8
        .value_kind:     global_buffer
      - .actual_access:  read_only
        .address_space:  global
        .offset:         16
        .size:           8
        .value_kind:     global_buffer
      - .actual_access:  read_only
        .address_space:  global
        .offset:         24
        .size:           8
        .value_kind:     global_buffer
      - .address_space:  global
        .offset:         32
        .size:           8
        .value_kind:     global_buffer
      - .offset:         40
        .size:           4
        .value_kind:     by_value
      - .offset:         44
        .size:           4
        .value_kind:     by_value
      - .offset:         48
        .size:           4
        .value_kind:     by_value
      - .offset:         52
        .size:           4
        .value_kind:     by_value
      - .offset:         56
        .size:           4
        .value_kind:     by_value
      - .actual_access:  read_only
        .address_space:  global
        .offset:         64
        .size:           8
        .value_kind:     global_buffer
    .group_segment_fixed_size: 20608
    .kernarg_segment_align: 8
    .kernarg_segment_size: 72
    .language:       OpenCL C
    .language_version:
      - 2
      - 0
    .max_flat_workgroup_size: 1024
    .name:           _ZN4vllm10gptq_rdna320gemm_q4_kernel_rdna3I14__hip_bfloat16Li8EEEvPKT_PKjS7_S5_PS3_iiiiiPKi
    .private_segment_fixed_size: 144
    .sgpr_count:     33
    .sgpr_spill_count: 0
    .symbol:         _ZN4vllm10gptq_rdna320gemm_q4_kernel_rdna3I14__hip_bfloat16Li8EEEvPKT_PKjS7_S5_PS3_iiiiiPKi.kd
    .uniform_work_group_size: 1
    .uses_dynamic_stack: false
    .vgpr_count:     82
    .vgpr_spill_count: 0
    .wavefront_size: 32
    .workgroup_processor_mode: 1
amdhsa.target:   amdgcn-amd-amdhsa--gfx1100
amdhsa.version:
  - 1
  - 2
...

	.end_amdgpu_metadata
